;; amdgpu-corpus repo=ROCm/rocFFT kind=compiled arch=gfx950 opt=O3
	.text
	.amdgcn_target "amdgcn-amd-amdhsa--gfx950"
	.amdhsa_code_object_version 6
	.protected	bluestein_single_back_len1936_dim1_dp_op_CI_CI ; -- Begin function bluestein_single_back_len1936_dim1_dp_op_CI_CI
	.globl	bluestein_single_back_len1936_dim1_dp_op_CI_CI
	.p2align	8
	.type	bluestein_single_back_len1936_dim1_dp_op_CI_CI,@function
bluestein_single_back_len1936_dim1_dp_op_CI_CI: ; @bluestein_single_back_len1936_dim1_dp_op_CI_CI
; %bb.0:
	s_load_dwordx4 s[8:11], s[0:1], 0x28
	v_mul_u32_u24_e32 v1, 0x175, v0
	v_mov_b32_e32 v189, 0
	v_add_u32_sdwa v190, s2, v1 dst_sel:DWORD dst_unused:UNUSED_PAD src0_sel:DWORD src1_sel:WORD_1
	v_mov_b32_e32 v191, v189
	s_waitcnt lgkmcnt(0)
	v_cmp_gt_u64_e32 vcc, s[8:9], v[190:191]
	s_and_saveexec_b64 s[2:3], vcc
	s_cbranch_execz .LBB0_31
; %bb.1:
	s_load_dwordx4 s[4:7], s[0:1], 0x18
	s_load_dwordx2 s[14:15], s[0:1], 0x0
	v_mov_b32_e32 v2, s10
	v_mov_b32_e32 v3, s11
	s_movk_i32 s2, 0xb0
	s_waitcnt lgkmcnt(0)
	s_load_dwordx4 s[8:11], s[4:5], 0x0
	v_mul_lo_u16_sdwa v1, v1, s2 dst_sel:DWORD dst_unused:UNUSED_PAD src0_sel:WORD_1 src1_sel:DWORD
	v_sub_u16_e32 v188, v0, v1
	v_lshlrev_b32_e32 v184, 4, v188
	v_mov_b32_e32 v185, v189
	s_waitcnt lgkmcnt(0)
	v_mad_u64_u32 v[0:1], s[2:3], s10, v190, 0
	v_mov_b32_e32 v4, v1
	v_mad_u64_u32 v[4:5], s[2:3], s11, v190, v[4:5]
	v_mov_b32_e32 v1, v4
	v_mad_u64_u32 v[4:5], s[2:3], s8, v188, 0
	v_mov_b32_e32 v6, v5
	v_mad_u64_u32 v[6:7], s[2:3], s9, v188, v[6:7]
	s_mul_i32 s2, s9, 0x3c8
	s_mul_hi_u32 s3, s8, 0x3c8
	v_mov_b32_e32 v5, v6
	v_lshl_add_u64 v[0:1], v[0:1], 4, v[2:3]
	s_add_i32 s3, s3, s2
	s_mul_i32 s2, s8, 0x3c8
	v_lshl_add_u64 v[0:1], v[4:5], 4, v[0:1]
	v_lshl_add_u64 v[186:187], s[14:15], 0, v[184:185]
	s_lshl_b64 s[4:5], s[2:3], 4
	s_movk_i32 s10, 0x3000
	global_load_dwordx4 v[20:23], v184, s[14:15]
	v_lshl_add_u64 v[4:5], v[0:1], 0, s[4:5]
	global_load_dwordx4 v[44:47], v[0:1], off
	global_load_dwordx4 v[40:43], v[4:5], off
	v_add_co_u32_e32 v0, vcc, s10, v186
	s_mul_hi_u32 s10, s8, 0xfffffce8
	s_mulk_i32 s9, 0xfce8
	s_sub_i32 s10, s10, s8
	v_addc_co_u32_e32 v1, vcc, 0, v187, vcc
	s_add_i32 s17, s10, s9
	s_mul_i32 s16, s8, 0xfffffce8
	global_load_dwordx4 v[0:3], v[0:1], off offset:3200
	s_lshl_b64 s[8:9], s[16:17], 4
	v_lshl_add_u64 v[8:9], v[4:5], 0, s[8:9]
	global_load_dwordx4 v[4:7], v184, s[14:15] offset:2816
	s_movk_i32 s10, 0x4000
	v_lshl_add_u64 v[12:13], v[8:9], 0, s[4:5]
	global_load_dwordx4 v[50:53], v[8:9], off
	global_load_dwordx4 v[54:57], v[12:13], off
	v_add_co_u32_e32 v8, vcc, s10, v186
	s_movk_i32 s10, 0x1000
	s_nop 0
	v_addc_co_u32_e32 v9, vcc, 0, v187, vcc
	global_load_dwordx4 v[8:11], v[8:9], off offset:1920
	v_lshl_add_u64 v[16:17], v[12:13], 0, s[8:9]
	v_add_co_u32_e32 v12, vcc, s10, v186
	s_movk_i32 s10, 0x5000
	s_nop 0
	v_addc_co_u32_e32 v13, vcc, 0, v187, vcc
	global_load_dwordx4 v[12:15], v[12:13], off offset:1536
	v_add_co_u32_e32 v32, vcc, s10, v186
	global_load_dwordx4 v[58:61], v[16:17], off
	v_lshl_add_u64 v[24:25], v[16:17], 0, s[4:5]
	v_addc_co_u32_e32 v33, vcc, 0, v187, vcc
	s_movk_i32 s10, 0x2000
	global_load_dwordx4 v[62:65], v[24:25], off
	global_load_dwordx4 v[16:19], v[32:33], off offset:640
	v_add_co_u32_e32 v36, vcc, s10, v186
	v_lshl_add_u64 v[24:25], v[24:25], 0, s[8:9]
	s_nop 0
	v_addc_co_u32_e32 v37, vcc, 0, v187, vcc
	global_load_dwordx4 v[28:31], v[36:37], off offset:256
	global_load_dwordx4 v[66:69], v[24:25], off
	v_lshl_add_u64 v[34:35], v[24:25], 0, s[4:5]
	global_load_dwordx4 v[70:73], v[34:35], off
	global_load_dwordx4 v[24:27], v[32:33], off offset:3456
	v_lshl_add_u64 v[38:39], v[34:35], 0, s[8:9]
	v_lshl_add_u64 v[48:49], v[38:39], 0, s[4:5]
	s_movk_i32 s4, 0x6000
	global_load_dwordx4 v[74:77], v[38:39], off
	global_load_dwordx4 v[32:35], v[36:37], off offset:3072
	v_add_co_u32_e32 v36, vcc, s4, v186
	global_load_dwordx4 v[78:81], v[48:49], off
	s_nop 0
	v_addc_co_u32_e32 v37, vcc, 0, v187, vcc
	global_load_dwordx4 v[36:39], v[36:37], off offset:2176
	s_load_dwordx2 s[12:13], s[0:1], 0x38
	s_load_dwordx4 s[8:11], s[6:7], 0x0
	s_movk_i32 s4, 0x58
	v_cmp_gt_u16_e64 s[4:5], s4, v188
	s_waitcnt vmcnt(18)
	v_mul_f64 v[82:83], v[46:47], v[22:23]
	v_fmac_f64_e32 v[82:83], v[44:45], v[20:21]
	v_mul_f64 v[44:45], v[44:45], v[22:23]
	v_fma_f64 v[84:85], v[46:47], v[20:21], -v[44:45]
	ds_write_b128 v184, v[82:85]
	s_waitcnt vmcnt(16)
	v_mul_f64 v[44:45], v[42:43], v[2:3]
	v_fmac_f64_e32 v[44:45], v[40:41], v[0:1]
	v_mul_f64 v[40:41], v[40:41], v[2:3]
	v_fma_f64 v[46:47], v[42:43], v[0:1], -v[40:41]
	ds_write_b128 v184, v[44:47] offset:15488
	s_waitcnt vmcnt(14)
	v_mul_f64 v[40:41], v[52:53], v[6:7]
	v_mul_f64 v[42:43], v[50:51], v[6:7]
	v_fmac_f64_e32 v[40:41], v[50:51], v[4:5]
	v_fma_f64 v[42:43], v[52:53], v[4:5], -v[42:43]
	ds_write_b128 v184, v[40:43] offset:2816
	s_waitcnt vmcnt(12)
	v_mul_f64 v[40:41], v[56:57], v[10:11]
	v_mul_f64 v[42:43], v[54:55], v[10:11]
	v_fmac_f64_e32 v[40:41], v[54:55], v[8:9]
	;; [unrolled: 6-line block ×8, first 2 shown]
	v_fma_f64 v[42:43], v[80:81], v[36:37], -v[42:43]
	ds_write_b128 v184, v[40:43] offset:26752
	s_and_saveexec_b64 s[6:7], s[4:5]
	s_cbranch_execz .LBB0_3
; %bb.2:
	v_lshl_add_u64 v[48:49], s[16:17], 4, v[48:49]
	v_add_co_u32_e32 v44, vcc, 0x3000, v186
	global_load_dwordx4 v[40:43], v[48:49], off
	s_nop 0
	v_addc_co_u32_e32 v45, vcc, 0, v187, vcc
	v_lshl_add_u64 v[48:49], s[2:3], 4, v[48:49]
	s_movk_i32 s2, 0x7000
	v_add_co_u32_e32 v52, vcc, s2, v186
	global_load_dwordx4 v[44:47], v[44:45], off offset:1792
	s_nop 0
	v_addc_co_u32_e32 v53, vcc, 0, v187, vcc
	global_load_dwordx4 v[48:51], v[48:49], off
	s_waitcnt vmcnt(1)
	v_mul_f64 v[56:57], v[42:43], v[46:47]
	global_load_dwordx4 v[52:55], v[52:53], off offset:896
	v_mul_f64 v[58:59], v[40:41], v[46:47]
	v_fmac_f64_e32 v[56:57], v[40:41], v[44:45]
	v_fma_f64 v[58:59], v[42:43], v[44:45], -v[58:59]
	s_waitcnt vmcnt(0)
	v_mul_f64 v[46:47], v[50:51], v[54:55]
	v_mul_f64 v[54:55], v[48:49], v[54:55]
	v_fmac_f64_e32 v[46:47], v[48:49], v[52:53]
	v_fma_f64 v[48:49], v[50:51], v[52:53], -v[54:55]
	ds_write_b128 v184, v[56:59] offset:14080
	ds_write_b128 v184, v[46:49] offset:29568
.LBB0_3:
	s_or_b64 exec, exec, s[6:7]
	s_waitcnt lgkmcnt(0)
	s_barrier
	ds_read_b128 v[80:83], v184
	ds_read_b128 v[72:75], v184 offset:2816
	ds_read_b128 v[76:79], v184 offset:18304
	;; [unrolled: 1-line block ×9, first 2 shown]
                                        ; implicit-def: $vgpr56_vgpr57
                                        ; implicit-def: $vgpr44_vgpr45
	s_and_saveexec_b64 s[2:3], s[4:5]
	s_cbranch_execz .LBB0_5
; %bb.4:
	ds_read_b128 v[44:47], v184 offset:14080
	ds_read_b128 v[56:59], v184 offset:29568
.LBB0_5:
	s_or_b64 exec, exec, s[2:3]
	s_mov_b64 s[2:3], 0xb0
	s_load_dwordx2 s[0:1], s[0:1], 0x8
	v_lshl_add_u64 v[106:107], v[188:189], 0, s[2:3]
	s_mov_b64 s[2:3], 0x160
	v_lshl_add_u64 v[104:105], v[188:189], 0, s[2:3]
	s_mov_b64 s[2:3], 0x370
	v_lshlrev_b32_e32 v94, 1, v188
	v_lshl_add_u64 v[92:93], v[188:189], 0, s[2:3]
	s_waitcnt lgkmcnt(0)
	v_add_f64 v[84:85], v[80:81], -v[84:85]
	v_add_f64 v[86:87], v[82:83], -v[86:87]
	;; [unrolled: 1-line block ×12, first 2 shown]
	v_add_u32_e32 v95, 0x420, v94
	v_add_u32_e32 v93, 0x580, v94
	v_fma_f64 v[80:81], v[80:81], 2.0, -v[84:85]
	v_fma_f64 v[82:83], v[82:83], 2.0, -v[86:87]
	;; [unrolled: 1-line block ×12, first 2 shown]
	v_lshlrev_b32_e32 v192, 5, v188
	v_lshlrev_b32_e32 v97, 1, v106
	;; [unrolled: 1-line block ×9, first 2 shown]
	s_barrier
	ds_write_b128 v192, v[80:83]
	ds_write_b128 v192, v[84:87] offset:16
	ds_write_b128 v193, v[72:75]
	ds_write_b128 v193, v[76:79] offset:16
	;; [unrolled: 2-line block ×3, first 2 shown]
	ds_write_b128 v56, v[52:55] offset:16896
	ds_write_b128 v195, v[60:63] offset:16
	;; [unrolled: 1-line block ×4, first 2 shown]
	s_and_saveexec_b64 s[2:3], s[4:5]
	s_cbranch_execz .LBB0_7
; %bb.6:
	ds_write_b128 v191, v[44:47]
	ds_write_b128 v191, v[48:51] offset:16
.LBB0_7:
	s_or_b64 exec, exec, s[2:3]
	s_waitcnt lgkmcnt(0)
	s_barrier
	ds_read_b128 v[68:71], v184
	ds_read_b128 v[60:63], v184 offset:2816
	ds_read_b128 v[80:83], v184 offset:18304
	;; [unrolled: 1-line block ×9, first 2 shown]
	s_and_saveexec_b64 s[2:3], s[4:5]
	s_cbranch_execz .LBB0_9
; %bb.8:
	ds_read_b128 v[44:47], v184 offset:14080
	ds_read_b128 v[48:51], v184 offset:29568
.LBB0_9:
	s_or_b64 exec, exec, s[2:3]
	v_and_b32_e32 v185, 1, v188
	v_lshlrev_b32_e32 v40, 4, v185
	global_load_dwordx4 v[40:43], v40, s[0:1]
	s_movk_i32 s2, 0x1fc
	s_movk_i32 s6, 0x7fc
	v_lshlrev_b32_e32 v202, 1, v92
	s_waitcnt lgkmcnt(0)
	s_barrier
	s_waitcnt vmcnt(0)
	v_mul_f64 v[98:99], v[90:91], v[42:43]
	v_fma_f64 v[98:99], v[88:89], v[40:41], -v[98:99]
	v_mul_f64 v[88:89], v[88:89], v[42:43]
	v_fmac_f64_e32 v[88:89], v[90:91], v[40:41]
	v_mul_f64 v[90:91], v[82:83], v[42:43]
	v_fma_f64 v[90:91], v[80:81], v[40:41], -v[90:91]
	v_mul_f64 v[80:81], v[80:81], v[42:43]
	v_fmac_f64_e32 v[80:81], v[82:83], v[40:41]
	v_mul_f64 v[82:83], v[78:79], v[42:43]
	v_fma_f64 v[100:101], v[76:77], v[40:41], -v[82:83]
	v_mul_f64 v[102:103], v[76:77], v[42:43]
	v_mul_f64 v[76:77], v[86:87], v[42:43]
	v_fma_f64 v[108:109], v[84:85], v[40:41], -v[76:77]
	v_mul_f64 v[76:77], v[74:75], v[42:43]
	v_fma_f64 v[112:113], v[72:73], v[40:41], -v[76:77]
	v_mul_f64 v[114:115], v[72:73], v[42:43]
	v_mul_f64 v[72:73], v[50:51], v[42:43]
	v_fma_f64 v[116:117], v[48:49], v[40:41], -v[72:73]
	v_mul_f64 v[118:119], v[48:49], v[42:43]
	v_add_f64 v[48:49], v[68:69], -v[98:99]
	v_mul_f64 v[110:111], v[84:85], v[42:43]
	v_fma_f64 v[72:73], v[68:69], 2.0, -v[48:49]
	v_add_f64 v[84:85], v[64:65], -v[100:101]
	v_add_f64 v[68:69], v[44:45], -v[116:117]
	v_fmac_f64_e32 v[118:119], v[50:51], v[40:41]
	v_add_f64 v[50:51], v[70:71], -v[88:89]
	v_fma_f64 v[88:89], v[64:65], 2.0, -v[84:85]
	v_fma_f64 v[64:65], v[44:45], 2.0, -v[68:69]
	v_and_or_b32 v44, v94, s2, v185
	s_movk_i32 s2, 0x3fc
	v_lshlrev_b32_e32 v197, 4, v44
	v_and_or_b32 v44, v97, s2, v185
	v_lshlrev_b32_e32 v198, 4, v44
	v_and_or_b32 v44, v96, s6, v185
	v_fmac_f64_e32 v[102:103], v[78:79], v[40:41]
	v_fmac_f64_e32 v[110:111], v[86:87], v[40:41]
	v_fmac_f64_e32 v[114:115], v[74:75], v[40:41]
	v_add_f64 v[76:77], v[60:61], -v[90:91]
	v_add_f64 v[78:79], v[62:63], -v[80:81]
	v_lshlrev_b32_e32 v199, 4, v44
	v_and_or_b32 v44, v95, s6, v185
	v_fma_f64 v[74:75], v[70:71], 2.0, -v[50:51]
	v_fma_f64 v[80:81], v[60:61], 2.0, -v[76:77]
	;; [unrolled: 1-line block ×3, first 2 shown]
	v_add_f64 v[86:87], v[66:67], -v[102:103]
	v_add_f64 v[98:99], v[56:57], -v[108:109]
	;; [unrolled: 1-line block ×6, first 2 shown]
	v_lshlrev_b32_e32 v200, 4, v44
	v_and_or_b32 v44, v93, s6, v185
	v_fma_f64 v[90:91], v[66:67], 2.0, -v[86:87]
	v_fma_f64 v[108:109], v[56:57], 2.0, -v[98:99]
	;; [unrolled: 1-line block ×6, first 2 shown]
	v_lshlrev_b32_e32 v201, 4, v44
	ds_write_b128 v197, v[72:75]
	ds_write_b128 v197, v[48:51] offset:32
	ds_write_b128 v198, v[80:83]
	ds_write_b128 v198, v[76:79] offset:32
	;; [unrolled: 2-line block ×5, first 2 shown]
	s_and_saveexec_b64 s[2:3], s[4:5]
	s_cbranch_execz .LBB0_11
; %bb.10:
	v_and_or_b32 v44, v202, s6, v185
	v_lshlrev_b32_e32 v44, 4, v44
	ds_write_b128 v44, v[64:67]
	ds_write_b128 v44, v[68:71] offset:32
.LBB0_11:
	s_or_b64 exec, exec, s[2:3]
	s_waitcnt lgkmcnt(0)
	s_barrier
	ds_read_b128 v[76:79], v184
	ds_read_b128 v[72:75], v184 offset:2816
	ds_read_b128 v[92:95], v184 offset:7744
	;; [unrolled: 1-line block ×7, first 2 shown]
	s_movk_i32 s2, 0x84
	v_cmp_gt_u16_e64 s[2:3], s2, v188
	s_and_saveexec_b64 s[6:7], s[2:3]
	s_cbranch_execz .LBB0_13
; %bb.12:
	ds_read_b128 v[56:59], v184 offset:5632
	ds_read_b128 v[60:63], v184 offset:13376
	;; [unrolled: 1-line block ×4, first 2 shown]
.LBB0_13:
	s_or_b64 exec, exec, s[6:7]
	v_and_b32_e32 v189, 3, v188
	v_mad_u64_u32 v[108:109], s[6:7], v189, 48, s[0:1]
	global_load_dwordx4 v[48:51], v[108:109], off offset:32
	global_load_dwordx4 v[52:55], v[108:109], off offset:48
	global_load_dwordx4 v[44:47], v[108:109], off offset:64
	v_lshlrev_b32_e32 v105, 2, v188
	s_movk_i32 s6, 0x3f0
	v_and_or_b32 v105, v105, s6, v189
	s_movk_i32 s6, 0x7f0
	v_mov_b32_e32 v141, 0
	v_lshlrev_b32_e32 v203, 4, v105
	v_lshlrev_b32_e32 v204, 2, v104
	s_waitcnt lgkmcnt(0)
	s_barrier
	s_waitcnt vmcnt(2)
	v_mul_f64 v[110:111], v[94:95], v[50:51]
	v_mul_f64 v[112:113], v[92:93], v[50:51]
	s_waitcnt vmcnt(1)
	v_mul_f64 v[114:115], v[98:99], v[54:55]
	v_mul_f64 v[116:117], v[96:97], v[54:55]
	;; [unrolled: 3-line block ×3, first 2 shown]
	v_mul_f64 v[122:123], v[82:83], v[50:51]
	v_mul_f64 v[124:125], v[80:81], v[50:51]
	;; [unrolled: 1-line block ×7, first 2 shown]
	v_fma_f64 v[92:93], v[92:93], v[48:49], -v[110:111]
	v_fmac_f64_e32 v[112:113], v[94:95], v[48:49]
	v_fma_f64 v[94:95], v[96:97], v[52:53], -v[114:115]
	v_fmac_f64_e32 v[116:117], v[98:99], v[52:53]
	;; [unrolled: 2-line block ×6, first 2 shown]
	v_mul_f64 v[142:143], v[70:71], v[46:47]
	v_fmac_f64_e32 v[144:145], v[70:71], v[44:45]
	v_add_f64 v[86:87], v[76:77], -v[94:95]
	v_add_f64 v[88:89], v[78:79], -v[116:117]
	;; [unrolled: 1-line block ×8, first 2 shown]
	v_fma_f64 v[98:99], v[76:77], 2.0, -v[86:87]
	v_fma_f64 v[100:101], v[78:79], 2.0, -v[88:89]
	v_fma_f64 v[102:103], v[112:113], 2.0, -v[90:91]
	v_add_f64 v[76:77], v[86:87], -v[90:91]
	v_add_f64 v[78:79], v[88:89], v[70:71]
	v_fma_f64 v[110:111], v[72:73], 2.0, -v[94:95]
	v_fma_f64 v[74:75], v[74:75], 2.0, -v[96:97]
	;; [unrolled: 1-line block ×4, first 2 shown]
	v_mul_f64 v[134:135], v[62:63], v[50:51]
	v_mul_f64 v[108:109], v[60:61], v[50:51]
	;; [unrolled: 1-line block ×4, first 2 shown]
	v_fma_f64 v[92:93], v[92:93], 2.0, -v[70:71]
	v_add_f64 v[70:71], v[94:95], -v[84:85]
	v_fma_f64 v[84:85], v[86:87], 2.0, -v[76:77]
	v_fma_f64 v[86:87], v[88:89], 2.0, -v[78:79]
	v_add_f64 v[88:89], v[110:111], -v[90:91]
	v_add_f64 v[90:91], v[74:75], -v[112:113]
	v_fma_f64 v[60:61], v[60:61], v[48:49], -v[134:135]
	v_fmac_f64_e32 v[108:109], v[62:63], v[48:49]
	v_fma_f64 v[62:63], v[64:65], v[52:53], -v[136:137]
	v_fmac_f64_e32 v[138:139], v[66:67], v[52:53]
	v_fma_f64 v[64:65], v[68:69], v[44:45], -v[142:143]
	v_add_f64 v[72:73], v[96:97], v[82:83]
	v_add_f64 v[82:83], v[100:101], -v[102:103]
	v_fma_f64 v[102:103], v[74:75], 2.0, -v[90:91]
	v_lshlrev_b32_e32 v74, 2, v106
	v_add_f64 v[62:63], v[56:57], -v[62:63]
	v_add_f64 v[66:67], v[58:59], -v[138:139]
	;; [unrolled: 1-line block ×5, first 2 shown]
	v_and_or_b32 v74, v74, s6, v189
	v_add_f64 v[136:137], v[62:63], -v[68:69]
	v_add_f64 v[138:139], v[66:67], v[64:65]
	v_fma_f64 v[92:93], v[94:95], 2.0, -v[70:71]
	v_fma_f64 v[94:95], v[96:97], 2.0, -v[72:73]
	;; [unrolled: 1-line block ×5, first 2 shown]
	v_lshlrev_b32_e32 v205, 4, v74
	ds_write_b128 v203, v[96:99]
	ds_write_b128 v203, v[84:87] offset:64
	ds_write_b128 v203, v[80:83] offset:128
	;; [unrolled: 1-line block ×3, first 2 shown]
	ds_write_b128 v205, v[100:103]
	ds_write_b128 v205, v[92:95] offset:64
	ds_write_b128 v205, v[88:91] offset:128
	;; [unrolled: 1-line block ×3, first 2 shown]
	s_and_saveexec_b64 s[6:7], s[2:3]
	s_cbranch_execz .LBB0_15
; %bb.14:
	v_fma_f64 v[72:73], v[66:67], 2.0, -v[138:139]
	v_fma_f64 v[70:71], v[62:63], 2.0, -v[136:137]
	;; [unrolled: 1-line block ×6, first 2 shown]
	s_movk_i32 s16, 0xff0
	v_add_f64 v[58:59], v[66:67], -v[58:59]
	v_add_f64 v[56:57], v[62:63], -v[56:57]
	v_and_or_b32 v60, v204, s16, v189
	v_fma_f64 v[66:67], v[66:67], 2.0, -v[58:59]
	v_fma_f64 v[64:65], v[62:63], 2.0, -v[56:57]
	v_lshlrev_b32_e32 v60, 4, v60
	ds_write_b128 v60, v[64:67]
	ds_write_b128 v60, v[70:73] offset:64
	ds_write_b128 v60, v[56:59] offset:128
	;; [unrolled: 1-line block ×3, first 2 shown]
.LBB0_15:
	s_or_b64 exec, exec, s[6:7]
	v_and_b32_e32 v122, 15, v188
	s_movk_i32 s33, 0xa0
	v_mov_b64_e32 v[100:101], s[0:1]
	v_mad_u64_u32 v[96:97], s[0:1], v122, s33, v[100:101]
	s_waitcnt lgkmcnt(0)
	s_barrier
	global_load_dwordx4 v[68:71], v[96:97], off offset:224
	global_load_dwordx4 v[64:67], v[96:97], off offset:240
	;; [unrolled: 1-line block ×10, first 2 shown]
	ds_read_b128 v[124:127], v184
	ds_read_b128 v[96:99], v184 offset:2816
	ds_read_b128 v[106:109], v184 offset:5632
	;; [unrolled: 1-line block ×10, first 2 shown]
	s_mov_b32 s24, 0xf8bb580b
	s_mov_b32 s38, 0x8eee2c13
	s_mov_b32 s16, 0x43842ef
	s_mov_b32 s22, 0xbb3a28a1
	s_mov_b32 s28, 0xfd768dbf
	s_mov_b32 s25, 0xbfe14ced
	s_mov_b32 s18, 0x8764f0ba
	s_mov_b32 s39, 0xbfed1bb4
	s_mov_b32 s0, 0xd9c712b6
	s_mov_b32 s17, 0xbfefac9e
	s_mov_b32 s6, 0x640f44db
	s_mov_b32 s23, 0xbfe82f19
	s_mov_b32 s20, 0x7f775887
	s_mov_b32 s29, 0xbfd207e7
	s_mov_b32 s26, 0x9bcd5057
	s_mov_b32 s19, 0x3feaeb8c
	s_mov_b32 s1, 0x3fda9628
	s_mov_b32 s7, 0xbfc2375f
	s_mov_b32 s21, 0xbfe4f49e
	s_mov_b32 s27, 0xbfeeb42a
	s_mov_b32 s41, 0x3fd207e7
	s_mov_b32 s40, s28
	s_mov_b32 s37, 0x3fefac9e
	s_mov_b32 s36, s16
	s_mov_b32 s31, 0x3fe14ced
	s_mov_b32 s30, s24
	s_mov_b32 s35, 0x3fed1bb4
	s_mov_b32 s34, s38
	v_lshrrev_b32_e32 v123, 4, v188
	v_mul_u32_u24_e32 v123, 0xb0, v123
	v_or_b32_e32 v122, v123, v122
	s_waitcnt lgkmcnt(0)
	s_barrier
	v_lshlrev_b32_e32 v140, 4, v188
	s_waitcnt vmcnt(9)
	v_mul_f64 v[162:163], v[98:99], v[70:71]
	v_mul_f64 v[164:165], v[96:97], v[70:71]
	s_waitcnt vmcnt(8)
	v_mul_f64 v[166:167], v[108:109], v[66:67]
	v_mul_f64 v[168:169], v[106:107], v[66:67]
	;; [unrolled: 3-line block ×3, first 2 shown]
	v_fma_f64 v[96:97], v[96:97], v[68:69], -v[162:163]
	v_fmac_f64_e32 v[164:165], v[98:99], v[68:69]
	v_mul_f64 v[170:171], v[116:117], v[62:63]
	s_waitcnt vmcnt(0)
	v_mul_f64 v[208:209], v[160:161], v[90:91]
	v_mul_f64 v[118:119], v[114:115], v[62:63]
	;; [unrolled: 1-line block ×4, first 2 shown]
	v_fma_f64 v[162:163], v[106:107], v[64:65], -v[166:167]
	v_fmac_f64_e32 v[168:169], v[108:109], v[64:65]
	v_fma_f64 v[106:107], v[132:133], v[84:85], -v[174:175]
	v_fmac_f64_e32 v[102:103], v[134:135], v[84:85]
	v_fma_f64 v[98:99], v[158:159], v[88:89], -v[208:209]
	v_add_f64 v[132:133], v[124:125], v[96:97]
	v_add_f64 v[134:135], v[126:127], v[164:165]
	v_mul_f64 v[172:173], v[130:131], v[58:59]
	v_mul_f64 v[110:111], v[128:129], v[58:59]
	;; [unrolled: 1-line block ×4, first 2 shown]
	v_fma_f64 v[166:167], v[114:115], v[60:61], -v[170:171]
	v_fmac_f64_e32 v[118:119], v[116:117], v[60:61]
	v_fma_f64 v[108:109], v[142:143], v[80:81], -v[176:177]
	v_fma_f64 v[116:117], v[146:147], v[76:77], -v[178:179]
	v_add_f64 v[142:143], v[96:97], v[98:99]
	v_add_f64 v[146:147], v[96:97], -v[98:99]
	v_add_f64 v[96:97], v[132:133], v[162:163]
	v_add_f64 v[132:133], v[134:135], v[168:169]
	v_fma_f64 v[114:115], v[128:129], v[56:57], -v[172:173]
	v_fmac_f64_e32 v[110:111], v[130:131], v[56:57]
	v_add_f64 v[96:97], v[96:97], v[166:167]
	v_add_f64 v[132:133], v[132:133], v[118:119]
	;; [unrolled: 1-line block ×4, first 2 shown]
	v_fmac_f64_e32 v[104:105], v[144:145], v[80:81]
	v_add_f64 v[96:97], v[96:97], v[106:107]
	v_add_f64 v[132:133], v[132:133], v[102:103]
	v_mul_f64 v[180:181], v[152:153], v[74:75]
	v_mul_f64 v[120:121], v[150:151], v[74:75]
	v_fmac_f64_e32 v[112:113], v[148:149], v[76:77]
	v_add_f64 v[96:97], v[96:97], v[108:109]
	v_add_f64 v[132:133], v[132:133], v[104:105]
	v_mul_f64 v[182:183], v[156:157], v[94:95]
	v_mul_f64 v[206:207], v[154:155], v[94:95]
	;; [unrolled: 1-line block ×3, first 2 shown]
	v_fma_f64 v[128:129], v[150:151], v[72:73], -v[180:181]
	v_fmac_f64_e32 v[120:121], v[152:153], v[72:73]
	v_add_f64 v[96:97], v[96:97], v[116:117]
	v_add_f64 v[132:133], v[132:133], v[112:113]
	v_fma_f64 v[130:131], v[154:155], v[92:93], -v[182:183]
	v_fmac_f64_e32 v[206:207], v[156:157], v[92:93]
	v_fmac_f64_e32 v[210:211], v[160:161], v[88:89]
	v_add_f64 v[96:97], v[96:97], v[128:129]
	v_add_f64 v[132:133], v[132:133], v[120:121]
	v_add_f64 v[148:149], v[164:165], -v[210:211]
	v_add_f64 v[96:97], v[96:97], v[130:131]
	v_add_f64 v[132:133], v[132:133], v[206:207]
	;; [unrolled: 1-line block ×5, first 2 shown]
	v_mul_f64 v[132:133], v[148:149], s[24:25]
	v_mul_f64 v[150:151], v[146:147], s[24:25]
	;; [unrolled: 1-line block ×10, first 2 shown]
	v_fma_f64 v[134:135], v[142:143], s[18:19], -v[132:133]
	v_fma_f64 v[152:153], s[18:19], v[144:145], v[150:151]
	v_fmac_f64_e32 v[132:133], s[18:19], v[142:143]
	v_fma_f64 v[150:151], v[144:145], s[18:19], -v[150:151]
	v_fma_f64 v[156:157], v[142:143], s[0:1], -v[154:155]
	v_fma_f64 v[160:161], s[0:1], v[144:145], v[158:159]
	v_fmac_f64_e32 v[154:155], s[0:1], v[142:143]
	v_fma_f64 v[158:159], v[144:145], s[0:1], -v[158:159]
	;; [unrolled: 4-line block ×5, first 2 shown]
	v_add_f64 v[146:147], v[168:169], -v[206:207]
	v_add_f64 v[134:135], v[124:125], v[134:135]
	v_add_f64 v[152:153], v[126:127], v[152:153]
	;; [unrolled: 1-line block ×21, first 2 shown]
	v_mul_f64 v[148:149], v[146:147], s[38:39]
	v_add_f64 v[130:131], v[162:163], -v[130:131]
	v_fma_f64 v[162:163], v[142:143], s[0:1], -v[148:149]
	v_add_f64 v[144:145], v[168:169], v[206:207]
	v_add_f64 v[134:135], v[162:163], v[134:135]
	v_mul_f64 v[162:163], v[130:131], s[38:39]
	v_fmac_f64_e32 v[148:149], s[0:1], v[142:143]
	v_add_f64 v[132:133], v[148:149], v[132:133]
	v_fma_f64 v[148:149], v[144:145], s[0:1], -v[162:163]
	v_add_f64 v[148:149], v[148:149], v[150:151]
	v_mul_f64 v[150:151], v[146:147], s[22:23]
	v_fma_f64 v[168:169], s[0:1], v[144:145], v[162:163]
	v_fma_f64 v[162:163], v[142:143], s[20:21], -v[150:151]
	v_add_f64 v[156:157], v[162:163], v[156:157]
	v_mul_f64 v[162:163], v[130:131], s[22:23]
	v_fmac_f64_e32 v[150:151], s[20:21], v[142:143]
	v_add_f64 v[150:151], v[150:151], v[154:155]
	v_fma_f64 v[154:155], v[144:145], s[20:21], -v[162:163]
	v_add_f64 v[152:153], v[168:169], v[152:153]
	v_fma_f64 v[168:169], s[20:21], v[144:145], v[162:163]
	v_add_f64 v[154:155], v[154:155], v[158:159]
	v_mul_f64 v[158:159], v[146:147], s[40:41]
	v_add_f64 v[160:161], v[168:169], v[160:161]
	v_fma_f64 v[162:163], v[142:143], s[26:27], -v[158:159]
	v_mul_f64 v[168:169], v[130:131], s[40:41]
	v_fmac_f64_e32 v[158:159], s[26:27], v[142:143]
	v_add_f64 v[162:163], v[162:163], v[170:171]
	v_fma_f64 v[170:171], s[26:27], v[144:145], v[168:169]
	v_add_f64 v[158:159], v[158:159], v[164:165]
	v_fma_f64 v[164:165], v[144:145], s[26:27], -v[168:169]
	v_mul_f64 v[168:169], v[146:147], s[36:37]
	v_add_f64 v[170:171], v[170:171], v[174:175]
	v_add_f64 v[164:165], v[164:165], v[172:173]
	v_fma_f64 v[172:173], v[142:143], s[6:7], -v[168:169]
	v_mul_f64 v[174:175], v[130:131], s[36:37]
	v_add_f64 v[172:173], v[172:173], v[178:179]
	v_fma_f64 v[178:179], s[6:7], v[144:145], v[174:175]
	v_fmac_f64_e32 v[168:169], s[6:7], v[142:143]
	v_fma_f64 v[174:175], v[144:145], s[6:7], -v[174:175]
	v_mul_f64 v[146:147], v[146:147], s[30:31]
	v_mul_f64 v[130:131], v[130:131], s[30:31]
	v_add_f64 v[168:169], v[168:169], v[176:177]
	v_add_f64 v[174:175], v[174:175], v[180:181]
	v_fma_f64 v[176:177], v[142:143], s[18:19], -v[146:147]
	v_fma_f64 v[180:181], s[18:19], v[144:145], v[130:131]
	v_fmac_f64_e32 v[146:147], s[18:19], v[142:143]
	v_fma_f64 v[130:131], v[144:145], s[18:19], -v[130:131]
	v_add_f64 v[142:143], v[118:119], v[120:121]
	v_add_f64 v[118:119], v[118:119], -v[120:121]
	v_add_f64 v[126:127], v[130:131], v[126:127]
	v_add_f64 v[130:131], v[166:167], v[128:129]
	v_mul_f64 v[120:121], v[118:119], s[16:17]
	v_add_f64 v[128:129], v[166:167], -v[128:129]
	v_fma_f64 v[144:145], v[130:131], s[6:7], -v[120:121]
	v_add_f64 v[134:135], v[144:145], v[134:135]
	v_mul_f64 v[144:145], v[128:129], s[16:17]
	v_fmac_f64_e32 v[120:121], s[6:7], v[130:131]
	v_add_f64 v[124:125], v[146:147], v[124:125]
	v_fma_f64 v[146:147], s[6:7], v[142:143], v[144:145]
	v_add_f64 v[120:121], v[120:121], v[132:133]
	v_fma_f64 v[132:133], v[142:143], s[6:7], -v[144:145]
	v_mul_f64 v[144:145], v[118:119], s[40:41]
	v_add_f64 v[146:147], v[146:147], v[152:153]
	v_add_f64 v[132:133], v[132:133], v[148:149]
	v_fma_f64 v[148:149], v[130:131], s[26:27], -v[144:145]
	v_mul_f64 v[152:153], v[128:129], s[40:41]
	v_fmac_f64_e32 v[144:145], s[26:27], v[130:131]
	v_add_f64 v[148:149], v[148:149], v[156:157]
	v_fma_f64 v[156:157], s[26:27], v[142:143], v[152:153]
	v_add_f64 v[144:145], v[144:145], v[150:151]
	v_fma_f64 v[150:151], v[142:143], s[26:27], -v[152:153]
	v_mul_f64 v[152:153], v[118:119], s[34:35]
	v_add_f64 v[156:157], v[156:157], v[160:161]
	v_add_f64 v[150:151], v[150:151], v[154:155]
	v_fma_f64 v[154:155], v[130:131], s[0:1], -v[152:153]
	v_mul_f64 v[160:161], v[128:129], s[34:35]
	v_fmac_f64_e32 v[152:153], s[0:1], v[130:131]
	v_add_f64 v[154:155], v[154:155], v[162:163]
	v_fma_f64 v[162:163], s[0:1], v[142:143], v[160:161]
	v_add_f64 v[152:153], v[152:153], v[158:159]
	v_fma_f64 v[158:159], v[142:143], s[0:1], -v[160:161]
	v_mul_f64 v[160:161], v[118:119], s[24:25]
	v_add_f64 v[158:159], v[158:159], v[164:165]
	v_fma_f64 v[164:165], v[130:131], s[18:19], -v[160:161]
	v_fmac_f64_e32 v[160:161], s[18:19], v[130:131]
	v_mul_f64 v[118:119], v[118:119], s[22:23]
	v_mul_f64 v[166:167], v[128:129], s[24:25]
	v_add_f64 v[160:161], v[160:161], v[168:169]
	v_fma_f64 v[168:169], v[130:131], s[20:21], -v[118:119]
	v_mul_f64 v[128:129], v[128:129], s[22:23]
	v_fmac_f64_e32 v[118:119], s[20:21], v[130:131]
	v_add_f64 v[164:165], v[164:165], v[172:173]
	v_fma_f64 v[172:173], s[20:21], v[142:143], v[128:129]
	v_add_f64 v[118:119], v[118:119], v[124:125]
	v_fma_f64 v[124:125], v[142:143], s[20:21], -v[128:129]
	v_add_f64 v[128:129], v[110:111], v[112:113]
	v_add_f64 v[110:111], v[110:111], -v[112:113]
	v_add_f64 v[124:125], v[124:125], v[126:127]
	v_add_f64 v[126:127], v[114:115], v[116:117]
	v_add_f64 v[114:115], v[114:115], -v[116:117]
	v_mul_f64 v[112:113], v[110:111], s[22:23]
	v_fma_f64 v[116:117], v[126:127], s[20:21], -v[112:113]
	v_mul_f64 v[130:131], v[114:115], s[22:23]
	v_fmac_f64_e32 v[112:113], s[20:21], v[126:127]
	v_add_f64 v[116:117], v[116:117], v[134:135]
	v_fma_f64 v[134:135], s[20:21], v[128:129], v[130:131]
	v_add_f64 v[112:113], v[112:113], v[120:121]
	v_fma_f64 v[120:121], v[128:129], s[20:21], -v[130:131]
	v_mul_f64 v[130:131], v[110:111], s[36:37]
	v_add_f64 v[162:163], v[162:163], v[170:171]
	v_fma_f64 v[170:171], s[18:19], v[142:143], v[166:167]
	v_fma_f64 v[166:167], v[142:143], s[18:19], -v[166:167]
	v_add_f64 v[120:121], v[120:121], v[132:133]
	v_fma_f64 v[132:133], v[126:127], s[6:7], -v[130:131]
	v_mul_f64 v[142:143], v[114:115], s[36:37]
	v_fmac_f64_e32 v[130:131], s[6:7], v[126:127]
	v_add_f64 v[134:135], v[134:135], v[146:147]
	v_fma_f64 v[146:147], s[6:7], v[128:129], v[142:143]
	v_add_f64 v[130:131], v[130:131], v[144:145]
	v_fma_f64 v[142:143], v[128:129], s[6:7], -v[142:143]
	v_mul_f64 v[144:145], v[110:111], s[24:25]
	v_add_f64 v[132:133], v[132:133], v[148:149]
	v_add_f64 v[142:143], v[142:143], v[150:151]
	v_fma_f64 v[148:149], v[126:127], s[18:19], -v[144:145]
	v_mul_f64 v[150:151], v[114:115], s[24:25]
	v_add_f64 v[148:149], v[148:149], v[154:155]
	v_fma_f64 v[154:155], s[18:19], v[128:129], v[150:151]
	v_fmac_f64_e32 v[144:145], s[18:19], v[126:127]
	v_fma_f64 v[150:151], v[128:129], s[18:19], -v[150:151]
	v_add_f64 v[178:179], v[178:179], v[182:183]
	v_add_f64 v[176:177], v[176:177], v[208:209]
	;; [unrolled: 1-line block ×4, first 2 shown]
	v_mul_f64 v[152:153], v[110:111], s[28:29]
	v_mul_f64 v[158:159], v[114:115], s[28:29]
	v_add_f64 v[180:181], v[180:181], v[210:211]
	v_add_f64 v[170:171], v[170:171], v[178:179]
	;; [unrolled: 1-line block ×5, first 2 shown]
	v_fma_f64 v[156:157], v[126:127], s[26:27], -v[152:153]
	v_fma_f64 v[162:163], s[26:27], v[128:129], v[158:159]
	v_fmac_f64_e32 v[152:153], s[26:27], v[126:127]
	v_mul_f64 v[110:111], v[110:111], s[34:35]
	v_mul_f64 v[114:115], v[114:115], s[34:35]
	v_add_f64 v[176:177], v[102:103], -v[104:105]
	v_add_f64 v[166:167], v[166:167], v[174:175]
	v_add_f64 v[172:173], v[172:173], v[180:181]
	;; [unrolled: 1-line block ×5, first 2 shown]
	v_fma_f64 v[158:159], v[128:129], s[26:27], -v[158:159]
	v_fma_f64 v[160:161], v[126:127], s[0:1], -v[110:111]
	v_fma_f64 v[164:165], s[0:1], v[128:129], v[114:115]
	v_fmac_f64_e32 v[110:111], s[0:1], v[126:127]
	v_add_f64 v[170:171], v[106:107], v[108:109]
	v_add_f64 v[174:175], v[106:107], -v[108:109]
	v_mul_f64 v[106:107], v[176:177], s[28:29]
	v_add_f64 v[158:159], v[158:159], v[166:167]
	v_add_f64 v[164:165], v[164:165], v[172:173]
	;; [unrolled: 1-line block ×3, first 2 shown]
	v_fma_f64 v[110:111], v[128:129], s[0:1], -v[114:115]
	v_add_f64 v[172:173], v[102:103], v[104:105]
	v_fma_f64 v[102:103], v[170:171], s[26:27], -v[106:107]
	v_mul_f64 v[114:115], v[176:177], s[30:31]
	v_add_f64 v[160:161], v[160:161], v[168:169]
	v_add_f64 v[168:169], v[110:111], v[124:125]
	v_add_f64 v[102:103], v[102:103], v[116:117]
	v_mul_f64 v[108:109], v[174:175], s[28:29]
	v_fmac_f64_e32 v[106:107], s[26:27], v[170:171]
	v_fma_f64 v[110:111], v[170:171], s[18:19], -v[114:115]
	v_mul_f64 v[116:117], v[174:175], s[30:31]
	v_mul_f64 v[124:125], v[176:177], s[22:23]
	v_fma_f64 v[104:105], s[26:27], v[172:173], v[108:109]
	v_add_f64 v[106:107], v[106:107], v[112:113]
	v_add_f64 v[110:111], v[110:111], v[132:133]
	v_fma_f64 v[112:113], s[18:19], v[172:173], v[116:117]
	v_fma_f64 v[118:119], v[170:171], s[20:21], -v[124:125]
	v_mul_f64 v[132:133], v[176:177], s[34:35]
	v_add_f64 v[104:105], v[104:105], v[134:135]
	v_fma_f64 v[108:109], v[172:173], s[26:27], -v[108:109]
	v_add_f64 v[112:113], v[112:113], v[146:147]
	v_fmac_f64_e32 v[114:115], s[18:19], v[170:171]
	v_fma_f64 v[116:117], v[172:173], s[18:19], -v[116:117]
	v_add_f64 v[118:119], v[118:119], v[148:149]
	v_mul_f64 v[126:127], v[174:175], s[22:23]
	v_fmac_f64_e32 v[124:125], s[20:21], v[170:171]
	v_fma_f64 v[128:129], v[170:171], s[0:1], -v[132:133]
	v_mul_f64 v[134:135], v[174:175], s[34:35]
	v_mul_f64 v[146:147], v[176:177], s[16:17]
	;; [unrolled: 1-line block ×3, first 2 shown]
	v_add_f64 v[108:109], v[108:109], v[120:121]
	v_add_f64 v[114:115], v[114:115], v[130:131]
	;; [unrolled: 1-line block ×3, first 2 shown]
	v_fma_f64 v[120:121], s[20:21], v[172:173], v[126:127]
	v_add_f64 v[124:125], v[124:125], v[144:145]
	v_fma_f64 v[126:127], v[172:173], s[20:21], -v[126:127]
	v_add_f64 v[128:129], v[128:129], v[156:157]
	v_fma_f64 v[130:131], s[0:1], v[172:173], v[134:135]
	v_fmac_f64_e32 v[132:133], s[0:1], v[170:171]
	v_fma_f64 v[134:135], v[172:173], s[0:1], -v[134:135]
	v_fma_f64 v[142:143], v[170:171], s[6:7], -v[146:147]
	v_fma_f64 v[144:145], s[6:7], v[172:173], v[148:149]
	v_fmac_f64_e32 v[146:147], s[6:7], v[170:171]
	v_fma_f64 v[148:149], v[172:173], s[6:7], -v[148:149]
	v_lshlrev_b32_e32 v206, 4, v122
	v_add_f64 v[120:121], v[120:121], v[154:155]
	v_add_f64 v[126:127], v[126:127], v[150:151]
	;; [unrolled: 1-line block ×9, first 2 shown]
	ds_write_b128 v206, v[96:99]
	ds_write_b128 v206, v[102:105] offset:256
	ds_write_b128 v206, v[110:113] offset:512
	;; [unrolled: 1-line block ×10, first 2 shown]
	v_mad_u64_u32 v[128:129], s[42:43], v188, s33, v[100:101]
	s_waitcnt lgkmcnt(0)
	s_barrier
	global_load_dwordx4 v[108:111], v[128:129], off offset:2784
	global_load_dwordx4 v[104:107], v[128:129], off offset:2800
	;; [unrolled: 1-line block ×9, first 2 shown]
	s_nop 0
	global_load_dwordx4 v[128:131], v[128:129], off offset:2928
	ds_read_b128 v[164:167], v184
	ds_read_b128 v[142:145], v184 offset:2816
	ds_read_b128 v[146:149], v184 offset:5632
	;; [unrolled: 1-line block ×10, first 2 shown]
	s_waitcnt vmcnt(9) lgkmcnt(9)
	v_mul_f64 v[154:155], v[144:145], v[110:111]
	v_fma_f64 v[156:157], v[142:143], v[108:109], -v[154:155]
	v_mul_f64 v[216:217], v[142:143], v[110:111]
	s_waitcnt vmcnt(8) lgkmcnt(8)
	v_mul_f64 v[142:143], v[148:149], v[106:107]
	v_fma_f64 v[218:219], v[146:147], v[104:105], -v[142:143]
	s_waitcnt vmcnt(7) lgkmcnt(7)
	v_mul_f64 v[142:143], v[152:153], v[102:103]
	v_fmac_f64_e32 v[216:217], v[144:145], v[108:109]
	v_fma_f64 v[222:223], v[150:151], v[100:101], -v[142:143]
	s_waitcnt vmcnt(6) lgkmcnt(6)
	v_mul_f64 v[142:143], v[160:161], v[98:99]
	s_waitcnt vmcnt(4) lgkmcnt(4)
	v_mul_f64 v[144:145], v[174:175], v[122:123]
	v_mul_f64 v[224:225], v[150:151], v[102:103]
	v_fma_f64 v[154:155], v[158:159], v[96:97], -v[142:143]
	v_mul_f64 v[158:159], v[158:159], v[98:99]
	v_fma_f64 v[150:151], v[172:173], v[120:121], -v[144:145]
	s_waitcnt vmcnt(3) lgkmcnt(3)
	v_mul_f64 v[144:145], v[178:179], v[118:119]
	v_mul_f64 v[220:221], v[146:147], v[106:107]
	v_fmac_f64_e32 v[158:159], v[160:161], v[96:97]
	v_mul_f64 v[142:143], v[170:171], v[126:127]
	v_fma_f64 v[160:161], v[176:177], v[116:117], -v[144:145]
	s_waitcnt vmcnt(2) lgkmcnt(2)
	v_mul_f64 v[144:145], v[182:183], v[114:115]
	v_fmac_f64_e32 v[220:221], v[148:149], v[104:105]
	v_fma_f64 v[142:143], v[168:169], v[124:125], -v[142:143]
	v_mul_f64 v[148:149], v[168:169], v[126:127]
	v_fma_f64 v[168:169], v[180:181], v[112:113], -v[144:145]
	s_waitcnt vmcnt(1) lgkmcnt(1)
	v_mul_f64 v[144:145], v[210:211], v[134:135]
	v_fmac_f64_e32 v[224:225], v[152:153], v[100:101]
	v_mul_f64 v[152:153], v[172:173], v[122:123]
	v_fma_f64 v[172:173], v[208:209], v[132:133], -v[144:145]
	s_waitcnt vmcnt(0) lgkmcnt(0)
	v_mul_f64 v[144:145], v[214:215], v[130:131]
	v_mul_f64 v[162:163], v[176:177], v[118:119]
	v_fma_f64 v[176:177], v[212:213], v[128:129], -v[144:145]
	v_add_f64 v[144:145], v[164:165], v[156:157]
	v_add_f64 v[146:147], v[166:167], v[216:217]
	;; [unrolled: 1-line block ×7, first 2 shown]
	v_fmac_f64_e32 v[148:149], v[170:171], v[124:125]
	v_add_f64 v[146:147], v[146:147], v[158:159]
	v_add_f64 v[144:145], v[144:145], v[142:143]
	v_fmac_f64_e32 v[152:153], v[174:175], v[120:121]
	v_add_f64 v[146:147], v[146:147], v[148:149]
	v_add_f64 v[144:145], v[144:145], v[150:151]
	v_fmac_f64_e32 v[162:163], v[178:179], v[116:117]
	v_mul_f64 v[170:171], v[180:181], v[114:115]
	v_add_f64 v[146:147], v[146:147], v[152:153]
	v_add_f64 v[144:145], v[144:145], v[160:161]
	v_fmac_f64_e32 v[170:171], v[182:183], v[112:113]
	v_mul_f64 v[174:175], v[208:209], v[134:135]
	v_mul_f64 v[178:179], v[212:213], v[130:131]
	v_add_f64 v[146:147], v[146:147], v[162:163]
	v_add_f64 v[144:145], v[144:145], v[168:169]
	v_fmac_f64_e32 v[174:175], v[210:211], v[132:133]
	v_fmac_f64_e32 v[178:179], v[214:215], v[128:129]
	v_add_f64 v[146:147], v[146:147], v[170:171]
	v_add_f64 v[144:145], v[144:145], v[172:173]
	;; [unrolled: 1-line block ×5, first 2 shown]
	v_add_f64 v[156:157], v[156:157], -v[176:177]
	v_add_f64 v[176:177], v[216:217], -v[178:179]
	v_add_f64 v[146:147], v[146:147], v[178:179]
	v_add_f64 v[182:183], v[216:217], v[178:179]
	v_mul_f64 v[178:179], v[176:177], s[24:25]
	v_mul_f64 v[210:211], v[156:157], s[24:25]
	;; [unrolled: 1-line block ×6, first 2 shown]
	v_fma_f64 v[208:209], v[180:181], s[18:19], -v[178:179]
	v_fma_f64 v[212:213], s[18:19], v[182:183], v[210:211]
	v_fmac_f64_e32 v[178:179], s[18:19], v[180:181]
	v_fma_f64 v[216:217], v[180:181], s[0:1], -v[214:215]
	v_fmac_f64_e32 v[214:215], s[0:1], v[180:181]
	v_fma_f64 v[228:229], v[180:181], s[6:7], -v[226:227]
	;; [unrolled: 2-line block ×4, first 2 shown]
	v_fmac_f64_e32 v[176:177], s[26:27], v[180:181]
	v_mul_f64 v[180:181], v[156:157], s[38:39]
	v_mul_f64 v[238:239], v[156:157], s[16:17]
	;; [unrolled: 1-line block ×4, first 2 shown]
	v_fma_f64 v[210:211], v[182:183], s[18:19], -v[210:211]
	v_fma_f64 v[236:237], s[0:1], v[182:183], v[180:181]
	v_fma_f64 v[180:181], v[182:183], s[0:1], -v[180:181]
	v_fma_f64 v[240:241], s[6:7], v[182:183], v[238:239]
	;; [unrolled: 2-line block ×4, first 2 shown]
	v_fma_f64 v[156:157], v[182:183], s[26:27], -v[156:157]
	v_add_f64 v[182:183], v[164:165], v[208:209]
	v_add_f64 v[208:209], v[166:167], v[212:213]
	;; [unrolled: 1-line block ×12, first 2 shown]
	v_add_f64 v[174:175], v[220:221], -v[174:175]
	v_add_f64 v[210:211], v[166:167], v[210:211]
	v_add_f64 v[216:217], v[166:167], v[236:237]
	;; [unrolled: 1-line block ×10, first 2 shown]
	v_add_f64 v[172:173], v[218:219], -v[172:173]
	v_mul_f64 v[218:219], v[174:175], s[38:39]
	v_fma_f64 v[220:221], v[166:167], s[0:1], -v[218:219]
	v_add_f64 v[182:183], v[220:221], v[182:183]
	v_mul_f64 v[220:221], v[172:173], s[38:39]
	v_fmac_f64_e32 v[218:219], s[0:1], v[166:167]
	v_add_f64 v[178:179], v[218:219], v[178:179]
	v_fma_f64 v[218:219], v[176:177], s[0:1], -v[220:221]
	v_add_f64 v[210:211], v[218:219], v[210:211]
	v_mul_f64 v[218:219], v[174:175], s[22:23]
	v_fma_f64 v[246:247], s[0:1], v[176:177], v[220:221]
	v_fma_f64 v[220:221], v[166:167], s[20:21], -v[218:219]
	v_add_f64 v[212:213], v[220:221], v[212:213]
	v_mul_f64 v[220:221], v[172:173], s[22:23]
	v_fmac_f64_e32 v[218:219], s[20:21], v[166:167]
	v_add_f64 v[214:215], v[218:219], v[214:215]
	v_fma_f64 v[218:219], v[176:177], s[20:21], -v[220:221]
	v_add_f64 v[180:181], v[218:219], v[180:181]
	v_mul_f64 v[218:219], v[174:175], s[40:41]
	v_add_f64 v[208:209], v[246:247], v[208:209]
	v_fma_f64 v[246:247], s[20:21], v[176:177], v[220:221]
	v_fma_f64 v[220:221], v[166:167], s[26:27], -v[218:219]
	v_add_f64 v[220:221], v[220:221], v[228:229]
	v_mul_f64 v[228:229], v[172:173], s[40:41]
	v_fmac_f64_e32 v[218:219], s[26:27], v[166:167]
	v_add_f64 v[216:217], v[246:247], v[216:217]
	v_fma_f64 v[246:247], s[26:27], v[176:177], v[228:229]
	v_add_f64 v[218:219], v[218:219], v[226:227]
	v_fma_f64 v[226:227], v[176:177], s[26:27], -v[228:229]
	v_mul_f64 v[228:229], v[174:175], s[36:37]
	v_add_f64 v[226:227], v[226:227], v[238:239]
	v_fma_f64 v[238:239], v[166:167], s[6:7], -v[228:229]
	v_add_f64 v[232:233], v[238:239], v[232:233]
	v_mul_f64 v[238:239], v[172:173], s[36:37]
	v_fmac_f64_e32 v[228:229], s[6:7], v[166:167]
	v_mul_f64 v[174:175], v[174:175], s[30:31]
	v_add_f64 v[236:237], v[246:247], v[236:237]
	v_fma_f64 v[246:247], s[6:7], v[176:177], v[238:239]
	v_add_f64 v[228:229], v[228:229], v[230:231]
	v_fma_f64 v[230:231], v[176:177], s[6:7], -v[238:239]
	v_fma_f64 v[238:239], v[166:167], s[18:19], -v[174:175]
	v_mul_f64 v[172:173], v[172:173], s[30:31]
	v_fmac_f64_e32 v[174:175], s[18:19], v[166:167]
	v_add_f64 v[164:165], v[174:175], v[164:165]
	v_fma_f64 v[166:167], v[176:177], s[18:19], -v[172:173]
	v_add_f64 v[174:175], v[224:225], v[170:171]
	v_add_f64 v[170:171], v[224:225], -v[170:171]
	v_add_f64 v[234:235], v[238:239], v[234:235]
	v_fma_f64 v[238:239], s[18:19], v[176:177], v[172:173]
	v_add_f64 v[166:167], v[166:167], v[156:157]
	v_add_f64 v[172:173], v[222:223], v[168:169]
	v_mul_f64 v[156:157], v[170:171], s[16:17]
	v_add_f64 v[168:169], v[222:223], -v[168:169]
	v_fma_f64 v[176:177], v[172:173], s[6:7], -v[156:157]
	v_add_f64 v[176:177], v[176:177], v[182:183]
	v_mul_f64 v[182:183], v[168:169], s[16:17]
	v_fmac_f64_e32 v[156:157], s[6:7], v[172:173]
	v_add_f64 v[178:179], v[156:157], v[178:179]
	v_fma_f64 v[156:157], v[174:175], s[6:7], -v[182:183]
	v_fma_f64 v[222:223], s[6:7], v[174:175], v[182:183]
	v_add_f64 v[182:183], v[156:157], v[210:211]
	v_mul_f64 v[156:157], v[170:171], s[40:41]
	v_fma_f64 v[210:211], v[172:173], s[26:27], -v[156:157]
	v_add_f64 v[210:211], v[210:211], v[212:213]
	v_mul_f64 v[212:213], v[168:169], s[40:41]
	v_fmac_f64_e32 v[156:157], s[26:27], v[172:173]
	v_add_f64 v[214:215], v[156:157], v[214:215]
	v_fma_f64 v[156:157], v[174:175], s[26:27], -v[212:213]
	v_add_f64 v[180:181], v[156:157], v[180:181]
	v_mul_f64 v[156:157], v[170:171], s[34:35]
	v_add_f64 v[208:209], v[222:223], v[208:209]
	v_fma_f64 v[222:223], s[26:27], v[174:175], v[212:213]
	v_fma_f64 v[212:213], v[172:173], s[0:1], -v[156:157]
	v_add_f64 v[212:213], v[212:213], v[220:221]
	v_mul_f64 v[220:221], v[168:169], s[34:35]
	v_fmac_f64_e32 v[156:157], s[0:1], v[172:173]
	v_add_f64 v[218:219], v[156:157], v[218:219]
	v_fma_f64 v[156:157], v[174:175], s[0:1], -v[220:221]
	v_add_f64 v[216:217], v[222:223], v[216:217]
	v_fma_f64 v[222:223], s[0:1], v[174:175], v[220:221]
	v_add_f64 v[220:221], v[156:157], v[226:227]
	v_mul_f64 v[156:157], v[170:171], s[24:25]
	v_fma_f64 v[224:225], v[172:173], s[18:19], -v[156:157]
	v_mul_f64 v[226:227], v[168:169], s[24:25]
	v_fmac_f64_e32 v[156:157], s[18:19], v[172:173]
	v_add_f64 v[230:231], v[230:231], v[242:243]
	v_add_f64 v[228:229], v[156:157], v[228:229]
	v_lshl_add_u64 v[156:157], s[14:15], 0, v[140:141]
	v_fma_f64 v[140:141], v[174:175], s[18:19], -v[226:227]
	v_mul_f64 v[168:169], v[168:169], s[22:23]
	v_add_f64 v[140:141], v[140:141], v[230:231]
	v_mul_f64 v[170:171], v[170:171], s[22:23]
	v_fma_f64 v[230:231], s[20:21], v[174:175], v[168:169]
	v_fma_f64 v[168:169], v[174:175], s[20:21], -v[168:169]
	v_add_f64 v[224:225], v[224:225], v[232:233]
	v_fma_f64 v[232:233], s[18:19], v[174:175], v[226:227]
	v_fma_f64 v[226:227], v[172:173], s[20:21], -v[170:171]
	v_fmac_f64_e32 v[170:171], s[20:21], v[172:173]
	v_add_f64 v[166:167], v[168:169], v[166:167]
	v_add_f64 v[168:169], v[154:155], v[160:161]
	v_add_f64 v[154:155], v[154:155], -v[160:161]
	v_add_f64 v[164:165], v[170:171], v[164:165]
	v_add_f64 v[170:171], v[158:159], v[162:163]
	v_add_f64 v[158:159], v[158:159], -v[162:163]
	v_mul_f64 v[172:173], v[154:155], s[22:23]
	v_mul_f64 v[160:161], v[158:159], s[22:23]
	v_fma_f64 v[174:175], s[20:21], v[170:171], v[172:173]
	v_fma_f64 v[172:173], v[170:171], s[20:21], -v[172:173]
	v_fma_f64 v[162:163], v[168:169], s[20:21], -v[160:161]
	v_add_f64 v[172:173], v[172:173], v[182:183]
	v_mul_f64 v[182:183], v[154:155], s[36:37]
	v_add_f64 v[162:163], v[162:163], v[176:177]
	v_add_f64 v[174:175], v[174:175], v[208:209]
	v_fmac_f64_e32 v[160:161], s[20:21], v[168:169]
	v_mul_f64 v[176:177], v[158:159], s[36:37]
	v_fma_f64 v[208:209], s[6:7], v[170:171], v[182:183]
	v_fma_f64 v[182:183], v[170:171], s[6:7], -v[182:183]
	v_add_f64 v[160:161], v[160:161], v[178:179]
	v_fma_f64 v[178:179], v[168:169], s[6:7], -v[176:177]
	v_add_f64 v[180:181], v[182:183], v[180:181]
	v_mul_f64 v[182:183], v[158:159], s[24:25]
	v_add_f64 v[178:179], v[178:179], v[210:211]
	v_fma_f64 v[210:211], v[168:169], s[18:19], -v[182:183]
	v_fmac_f64_e32 v[176:177], s[6:7], v[168:169]
	v_add_f64 v[210:211], v[210:211], v[212:213]
	v_mul_f64 v[212:213], v[154:155], s[24:25]
	v_add_f64 v[176:177], v[176:177], v[214:215]
	v_fma_f64 v[214:215], s[18:19], v[170:171], v[212:213]
	v_fma_f64 v[212:213], v[170:171], s[18:19], -v[212:213]
	v_add_f64 v[222:223], v[222:223], v[236:237]
	v_add_f64 v[212:213], v[212:213], v[220:221]
	v_mul_f64 v[220:221], v[154:155], s[28:29]
	v_add_f64 v[214:215], v[214:215], v[222:223]
	v_fma_f64 v[222:223], s[26:27], v[170:171], v[220:221]
	v_fma_f64 v[220:221], v[170:171], s[26:27], -v[220:221]
	v_add_f64 v[208:209], v[208:209], v[216:217]
	v_fmac_f64_e32 v[182:183], s[18:19], v[168:169]
	v_mul_f64 v[216:217], v[158:159], s[28:29]
	v_add_f64 v[220:221], v[220:221], v[140:141]
	v_mul_f64 v[140:141], v[158:159], s[34:35]
	v_add_f64 v[240:241], v[246:247], v[240:241]
	v_add_f64 v[238:239], v[238:239], v[244:245]
	;; [unrolled: 1-line block ×4, first 2 shown]
	v_fma_f64 v[218:219], v[168:169], s[26:27], -v[216:217]
	v_fmac_f64_e32 v[216:217], s[26:27], v[168:169]
	v_fma_f64 v[158:159], v[168:169], s[0:1], -v[140:141]
	v_mul_f64 v[154:155], v[154:155], s[34:35]
	v_fmac_f64_e32 v[140:141], s[0:1], v[168:169]
	v_add_f64 v[232:233], v[232:233], v[240:241]
	v_add_f64 v[230:231], v[230:231], v[238:239]
	;; [unrolled: 1-line block ×5, first 2 shown]
	v_fma_f64 v[158:159], s[0:1], v[170:171], v[154:155]
	v_add_f64 v[228:229], v[140:141], v[164:165]
	v_fma_f64 v[140:141], v[170:171], s[0:1], -v[154:155]
	v_add_f64 v[238:239], v[148:149], -v[152:153]
	v_add_f64 v[222:223], v[222:223], v[232:233]
	v_add_f64 v[226:227], v[158:159], v[230:231]
	;; [unrolled: 1-line block ×4, first 2 shown]
	v_mul_f64 v[140:141], v[238:239], s[28:29]
	v_add_f64 v[236:237], v[142:143], -v[150:151]
	v_fma_f64 v[142:143], v[232:233], s[26:27], -v[140:141]
	v_mul_f64 v[166:167], v[238:239], s[22:23]
	v_add_f64 v[234:235], v[148:149], v[152:153]
	v_add_f64 v[148:149], v[142:143], v[162:163]
	v_mul_f64 v[142:143], v[236:237], s[28:29]
	v_fmac_f64_e32 v[140:141], s[26:27], v[232:233]
	v_mul_f64 v[158:159], v[238:239], s[30:31]
	v_fma_f64 v[162:163], v[232:233], s[20:21], -v[166:167]
	v_fmac_f64_e32 v[166:167], s[20:21], v[232:233]
	v_fma_f64 v[150:151], s[26:27], v[234:235], v[142:143]
	v_add_f64 v[140:141], v[140:141], v[160:161]
	v_fma_f64 v[152:153], v[232:233], s[18:19], -v[158:159]
	v_mul_f64 v[160:161], v[236:237], s[30:31]
	v_fmac_f64_e32 v[158:159], s[18:19], v[232:233]
	v_add_f64 v[166:167], v[166:167], v[182:183]
	v_mul_f64 v[182:183], v[238:239], s[16:17]
	v_add_f64 v[150:151], v[150:151], v[174:175]
	v_fma_f64 v[142:143], v[234:235], s[26:27], -v[142:143]
	v_add_f64 v[152:153], v[152:153], v[178:179]
	v_fma_f64 v[154:155], s[18:19], v[234:235], v[160:161]
	v_add_f64 v[158:159], v[158:159], v[176:177]
	v_fma_f64 v[160:161], v[234:235], s[18:19], -v[160:161]
	v_add_f64 v[162:163], v[162:163], v[210:211]
	v_mul_f64 v[168:169], v[236:237], s[22:23]
	v_mul_f64 v[174:175], v[238:239], s[34:35]
	;; [unrolled: 1-line block ×3, first 2 shown]
	v_fma_f64 v[178:179], v[232:233], s[6:7], -v[182:183]
	v_mul_f64 v[210:211], v[236:237], s[16:17]
	v_fmac_f64_e32 v[182:183], s[6:7], v[232:233]
	v_add_f64 v[142:143], v[142:143], v[172:173]
	v_add_f64 v[154:155], v[154:155], v[208:209]
	;; [unrolled: 1-line block ×3, first 2 shown]
	v_fma_f64 v[164:165], s[20:21], v[234:235], v[168:169]
	v_fma_f64 v[168:169], v[234:235], s[20:21], -v[168:169]
	v_fma_f64 v[170:171], v[232:233], s[0:1], -v[174:175]
	v_fma_f64 v[172:173], s[0:1], v[234:235], v[176:177]
	v_fmac_f64_e32 v[174:175], s[0:1], v[232:233]
	v_fma_f64 v[176:177], v[234:235], s[0:1], -v[176:177]
	v_fma_f64 v[180:181], s[6:7], v[234:235], v[210:211]
	v_add_f64 v[208:209], v[182:183], v[228:229]
	v_fma_f64 v[182:183], v[234:235], s[6:7], -v[210:211]
	s_movk_i32 s6, 0x7000
	v_add_f64 v[164:165], v[164:165], v[214:215]
	v_add_f64 v[168:169], v[168:169], v[212:213]
	;; [unrolled: 1-line block ×9, first 2 shown]
	ds_write_b128 v184, v[144:147]
	ds_write_b128 v184, v[148:151] offset:2816
	ds_write_b128 v184, v[152:155] offset:5632
	;; [unrolled: 1-line block ×10, first 2 shown]
	v_add_co_u32_e32 v144, vcc, s6, v156
	s_mov_b32 s0, 0xb000
	s_nop 0
	v_addc_co_u32_e32 v145, vcc, 0, v157, vcc
	v_add_co_u32_e32 v148, vcc, s0, v156
	s_waitcnt lgkmcnt(0)
	s_barrier
	global_load_dwordx4 v[144:147], v[144:145], off offset:2304
	v_addc_co_u32_e32 v149, vcc, 0, v157, vcc
	global_load_dwordx4 v[148:151], v[148:149], off offset:1408
	s_mov_b64 s[0:1], 0x7900
	v_lshl_add_u64 v[158:159], v[156:157], 0, s[0:1]
	global_load_dwordx4 v[152:155], v[158:159], off offset:2816
	s_mov_b32 s0, 0xc000
	v_add_co_u32_e32 v168, vcc, s0, v156
	s_mov_b32 s0, 0x8000
	s_nop 0
	v_addc_co_u32_e32 v169, vcc, 0, v157, vcc
	global_load_dwordx4 v[160:163], v[168:169], off offset:128
	v_add_co_u32_e32 v164, vcc, s0, v156
	s_mov_b32 s0, 0x9000
	s_nop 0
	v_addc_co_u32_e32 v165, vcc, 0, v157, vcc
	global_load_dwordx4 v[164:167], v[164:165], off offset:3840
	s_nop 0
	global_load_dwordx4 v[168:171], v[168:169], off offset:2944
	v_add_co_u32_e32 v172, vcc, s0, v156
	s_mov_b32 s0, 0xd000
	s_nop 0
	v_addc_co_u32_e32 v173, vcc, 0, v157, vcc
	global_load_dwordx4 v[172:175], v[172:173], off offset:2560
	v_add_co_u32_e32 v176, vcc, s0, v156
	s_mov_b32 s0, 0xa000
	s_nop 0
	v_addc_co_u32_e32 v177, vcc, 0, v157, vcc
	v_add_co_u32_e32 v180, vcc, s0, v156
	global_load_dwordx4 v[176:179], v[176:177], off offset:1664
	s_nop 0
	v_addc_co_u32_e32 v181, vcc, 0, v157, vcc
	global_load_dwordx4 v[180:183], v[180:181], off offset:1280
	s_mov_b32 s0, 0xe000
	v_add_co_u32_e32 v156, vcc, s0, v156
	s_nop 1
	v_addc_co_u32_e32 v157, vcc, 0, v157, vcc
	global_load_dwordx4 v[208:211], v[156:157], off offset:384
	ds_read_b128 v[212:215], v184
	ds_read_b128 v[216:219], v184 offset:2816
	ds_read_b128 v[224:227], v184 offset:15488
	s_waitcnt vmcnt(9) lgkmcnt(2)
	v_mul_f64 v[156:157], v[214:215], v[146:147]
	v_mul_f64 v[222:223], v[212:213], v[146:147]
	v_fma_f64 v[220:221], v[212:213], v[144:145], -v[156:157]
	v_fmac_f64_e32 v[222:223], v[214:215], v[144:145]
	ds_read_b128 v[144:147], v184 offset:11264
	s_waitcnt vmcnt(8) lgkmcnt(1)
	v_mul_f64 v[156:157], v[226:227], v[150:151]
	v_mul_f64 v[214:215], v[224:225], v[150:151]
	v_fma_f64 v[212:213], v[224:225], v[148:149], -v[156:157]
	v_fmac_f64_e32 v[214:215], v[226:227], v[148:149]
	ds_write_b128 v184, v[212:215] offset:15488
	ds_read_b128 v[212:215], v184 offset:18304
	s_waitcnt vmcnt(7)
	v_mul_f64 v[148:149], v[218:219], v[154:155]
	v_mul_f64 v[150:151], v[216:217], v[154:155]
	v_fma_f64 v[148:149], v[216:217], v[152:153], -v[148:149]
	v_fmac_f64_e32 v[150:151], v[218:219], v[152:153]
	ds_read_b128 v[216:219], v184 offset:5632
	ds_write_b128 v184, v[148:151] offset:2816
	ds_read_b128 v[148:151], v184 offset:21120
	s_waitcnt vmcnt(6) lgkmcnt(3)
	v_mul_f64 v[152:153], v[214:215], v[162:163]
	v_mul_f64 v[154:155], v[212:213], v[162:163]
	v_fma_f64 v[152:153], v[212:213], v[160:161], -v[152:153]
	v_fmac_f64_e32 v[154:155], v[214:215], v[160:161]
	ds_write_b128 v184, v[152:155] offset:18304
	ds_read_b128 v[152:155], v184 offset:8448
	s_waitcnt vmcnt(5) lgkmcnt(4)
	v_mul_f64 v[156:157], v[218:219], v[166:167]
	v_mul_f64 v[162:163], v[216:217], v[166:167]
	v_fma_f64 v[160:161], v[216:217], v[164:165], -v[156:157]
	v_fmac_f64_e32 v[162:163], v[218:219], v[164:165]
	ds_write_b128 v184, v[160:163] offset:5632
	s_waitcnt vmcnt(4) lgkmcnt(3)
	v_mul_f64 v[156:157], v[150:151], v[170:171]
	v_mul_f64 v[162:163], v[148:149], v[170:171]
	v_fma_f64 v[160:161], v[148:149], v[168:169], -v[156:157]
	v_fmac_f64_e32 v[162:163], v[150:151], v[168:169]
	ds_write_b128 v184, v[160:163] offset:21120
	ds_read_b128 v[160:163], v184 offset:23936
	s_waitcnt vmcnt(3) lgkmcnt(3)
	v_mul_f64 v[148:149], v[154:155], v[174:175]
	v_mul_f64 v[150:151], v[152:153], v[174:175]
	v_fma_f64 v[148:149], v[152:153], v[172:173], -v[148:149]
	v_fmac_f64_e32 v[150:151], v[154:155], v[172:173]
	ds_write_b128 v184, v[148:151] offset:8448
	ds_read_b128 v[148:151], v184 offset:26752
	s_waitcnt vmcnt(2) lgkmcnt(2)
	v_mul_f64 v[152:153], v[162:163], v[178:179]
	v_mul_f64 v[154:155], v[160:161], v[178:179]
	v_fma_f64 v[152:153], v[160:161], v[176:177], -v[152:153]
	v_fmac_f64_e32 v[154:155], v[162:163], v[176:177]
	ds_write_b128 v184, v[152:155] offset:23936
	s_waitcnt vmcnt(1)
	v_mul_f64 v[152:153], v[146:147], v[182:183]
	v_mul_f64 v[154:155], v[144:145], v[182:183]
	v_fma_f64 v[152:153], v[144:145], v[180:181], -v[152:153]
	v_fmac_f64_e32 v[154:155], v[146:147], v[180:181]
	s_waitcnt vmcnt(0) lgkmcnt(1)
	v_mul_f64 v[144:145], v[150:151], v[210:211]
	v_mul_f64 v[146:147], v[148:149], v[210:211]
	v_fma_f64 v[144:145], v[148:149], v[208:209], -v[144:145]
	v_fmac_f64_e32 v[146:147], v[150:151], v[208:209]
	ds_write_b128 v184, v[220:223]
	ds_write_b128 v184, v[152:155] offset:11264
	ds_write_b128 v184, v[144:147] offset:26752
	s_and_saveexec_b64 s[0:1], s[4:5]
	s_cbranch_execz .LBB0_17
; %bb.16:
	v_add_co_u32_e32 v144, vcc, 0x3000, v158
	s_nop 1
	v_addc_co_u32_e32 v145, vcc, 0, v159, vcc
	v_add_co_u32_e32 v148, vcc, s6, v158
	global_load_dwordx4 v[144:147], v[144:145], off offset:1792
	s_nop 0
	v_addc_co_u32_e32 v149, vcc, 0, v159, vcc
	global_load_dwordx4 v[148:151], v[148:149], off offset:896
	ds_read_b128 v[152:155], v184 offset:14080
	ds_read_b128 v[156:159], v184 offset:29568
	s_waitcnt vmcnt(1) lgkmcnt(1)
	v_mul_f64 v[160:161], v[154:155], v[146:147]
	v_mul_f64 v[162:163], v[152:153], v[146:147]
	v_fma_f64 v[160:161], v[152:153], v[144:145], -v[160:161]
	s_waitcnt vmcnt(0) lgkmcnt(0)
	v_mul_f64 v[164:165], v[158:159], v[150:151]
	v_mul_f64 v[146:147], v[156:157], v[150:151]
	v_fmac_f64_e32 v[162:163], v[154:155], v[144:145]
	v_fma_f64 v[144:145], v[156:157], v[148:149], -v[164:165]
	v_fmac_f64_e32 v[146:147], v[158:159], v[148:149]
	ds_write_b128 v184, v[160:163] offset:14080
	ds_write_b128 v184, v[144:147] offset:29568
.LBB0_17:
	s_or_b64 exec, exec, s[0:1]
	s_waitcnt lgkmcnt(0)
	s_barrier
	ds_read_b128 v[176:179], v184
	ds_read_b128 v[168:171], v184 offset:2816
	ds_read_b128 v[172:175], v184 offset:18304
	;; [unrolled: 1-line block ×9, first 2 shown]
	s_and_saveexec_b64 s[0:1], s[4:5]
	s_cbranch_execz .LBB0_19
; %bb.18:
	ds_read_b128 v[140:143], v184 offset:14080
	ds_read_b128 v[136:139], v184 offset:29568
.LBB0_19:
	s_or_b64 exec, exec, s[0:1]
	s_waitcnt lgkmcnt(3)
	v_add_f64 v[180:181], v[176:177], -v[180:181]
	v_add_f64 v[182:183], v[178:179], -v[182:183]
	s_waitcnt lgkmcnt(0)
	v_add_f64 v[136:137], v[140:141], -v[136:137]
	v_add_f64 v[138:139], v[142:143], -v[138:139]
	v_fma_f64 v[176:177], v[176:177], 2.0, -v[180:181]
	v_fma_f64 v[178:179], v[178:179], 2.0, -v[182:183]
	v_add_f64 v[172:173], v[168:169], -v[172:173]
	v_add_f64 v[174:175], v[170:171], -v[174:175]
	;; [unrolled: 1-line block ×8, first 2 shown]
	v_fma_f64 v[140:141], v[140:141], 2.0, -v[136:137]
	v_fma_f64 v[142:143], v[142:143], 2.0, -v[138:139]
	;; [unrolled: 1-line block ×10, first 2 shown]
	s_barrier
	ds_write_b128 v192, v[176:179]
	ds_write_b128 v192, v[180:183] offset:16
	ds_write_b128 v193, v[168:171]
	ds_write_b128 v193, v[172:175] offset:16
	;; [unrolled: 2-line block ×5, first 2 shown]
	s_and_saveexec_b64 s[0:1], s[4:5]
	s_cbranch_execz .LBB0_21
; %bb.20:
	ds_write_b128 v191, v[140:143]
	ds_write_b128 v191, v[136:139] offset:16
.LBB0_21:
	s_or_b64 exec, exec, s[0:1]
	s_waitcnt lgkmcnt(0)
	s_barrier
	ds_read_b128 v[160:163], v184
	ds_read_b128 v[156:159], v184 offset:2816
	ds_read_b128 v[176:179], v184 offset:18304
	ds_read_b128 v[168:171], v184 offset:21120
	ds_read_b128 v[152:155], v184 offset:5632
	ds_read_b128 v[148:151], v184 offset:8448
	ds_read_b128 v[180:183], v184 offset:15488
	ds_read_b128 v[144:147], v184 offset:11264
	ds_read_b128 v[172:175], v184 offset:23936
	ds_read_b128 v[164:167], v184 offset:26752
	s_and_saveexec_b64 s[0:1], s[4:5]
	s_cbranch_execz .LBB0_23
; %bb.22:
	ds_read_b128 v[140:143], v184 offset:14080
	ds_read_b128 v[136:139], v184 offset:29568
.LBB0_23:
	s_or_b64 exec, exec, s[0:1]
	s_waitcnt lgkmcnt(3)
	v_mul_f64 v[192:193], v[42:43], v[182:183]
	v_fmac_f64_e32 v[192:193], v[40:41], v[180:181]
	v_mul_f64 v[180:181], v[42:43], v[180:181]
	v_fma_f64 v[180:181], v[40:41], v[182:183], -v[180:181]
	v_mul_f64 v[182:183], v[42:43], v[178:179]
	v_fmac_f64_e32 v[182:183], v[40:41], v[176:177]
	v_mul_f64 v[176:177], v[42:43], v[176:177]
	v_fma_f64 v[176:177], v[40:41], v[178:179], -v[176:177]
	v_mul_f64 v[178:179], v[42:43], v[170:171]
	s_waitcnt lgkmcnt(0)
	v_mul_f64 v[212:213], v[42:43], v[166:167]
	v_fmac_f64_e32 v[178:179], v[40:41], v[168:169]
	v_mul_f64 v[168:169], v[42:43], v[168:169]
	v_fmac_f64_e32 v[212:213], v[40:41], v[164:165]
	v_mul_f64 v[164:165], v[42:43], v[164:165]
	v_fma_f64 v[194:195], v[40:41], v[170:171], -v[168:169]
	v_mul_f64 v[208:209], v[42:43], v[174:175]
	v_mul_f64 v[168:169], v[42:43], v[172:173]
	v_fma_f64 v[214:215], v[40:41], v[166:167], -v[164:165]
	v_mul_f64 v[216:217], v[42:43], v[138:139]
	v_mul_f64 v[42:43], v[42:43], v[136:137]
	v_fmac_f64_e32 v[216:217], v[40:41], v[136:137]
	v_fma_f64 v[218:219], v[40:41], v[138:139], -v[42:43]
	v_add_f64 v[136:137], v[144:145], -v[212:213]
	v_add_f64 v[138:139], v[146:147], -v[214:215]
	v_fmac_f64_e32 v[208:209], v[40:41], v[172:173]
	v_fma_f64 v[210:211], v[40:41], v[174:175], -v[168:169]
	v_add_f64 v[164:165], v[160:161], -v[192:193]
	v_add_f64 v[166:167], v[162:163], -v[180:181]
	v_fma_f64 v[40:41], v[144:145], 2.0, -v[136:137]
	v_fma_f64 v[42:43], v[146:147], 2.0, -v[138:139]
	v_add_f64 v[144:145], v[140:141], -v[216:217]
	v_add_f64 v[146:147], v[142:143], -v[218:219]
	v_fma_f64 v[160:161], v[160:161], 2.0, -v[164:165]
	v_fma_f64 v[162:163], v[162:163], 2.0, -v[166:167]
	v_add_f64 v[168:169], v[156:157], -v[182:183]
	v_add_f64 v[170:171], v[158:159], -v[176:177]
	;; [unrolled: 1-line block ×6, first 2 shown]
	v_fma_f64 v[140:141], v[140:141], 2.0, -v[144:145]
	v_fma_f64 v[142:143], v[142:143], 2.0, -v[146:147]
	;; [unrolled: 1-line block ×8, first 2 shown]
	s_barrier
	ds_write_b128 v197, v[160:163]
	ds_write_b128 v197, v[164:167] offset:32
	ds_write_b128 v198, v[156:159]
	ds_write_b128 v198, v[168:171] offset:32
	;; [unrolled: 2-line block ×5, first 2 shown]
	s_and_saveexec_b64 s[0:1], s[4:5]
	s_cbranch_execz .LBB0_25
; %bb.24:
	s_movk_i32 s6, 0x7fc
	v_and_or_b32 v148, v202, s6, v185
	v_lshlrev_b32_e32 v148, 4, v148
	ds_write_b128 v148, v[140:143]
	ds_write_b128 v148, v[144:147] offset:32
.LBB0_25:
	s_or_b64 exec, exec, s[0:1]
	s_waitcnt lgkmcnt(0)
	s_barrier
	ds_read_b128 v[152:155], v184
	ds_read_b128 v[148:151], v184 offset:2816
	ds_read_b128 v[176:179], v184 offset:7744
	;; [unrolled: 1-line block ×7, first 2 shown]
	s_and_saveexec_b64 s[0:1], s[2:3]
	s_cbranch_execz .LBB0_27
; %bb.26:
	ds_read_b128 v[40:43], v184 offset:5632
	ds_read_b128 v[136:139], v184 offset:13376
	;; [unrolled: 1-line block ×4, first 2 shown]
.LBB0_27:
	s_or_b64 exec, exec, s[0:1]
	s_waitcnt lgkmcnt(5)
	v_mul_f64 v[180:181], v[50:51], v[178:179]
	v_fmac_f64_e32 v[180:181], v[48:49], v[176:177]
	v_mul_f64 v[176:177], v[50:51], v[176:177]
	v_fma_f64 v[176:177], v[48:49], v[178:179], -v[176:177]
	s_waitcnt lgkmcnt(3)
	v_mul_f64 v[178:179], v[54:55], v[174:175]
	v_fmac_f64_e32 v[178:179], v[52:53], v[172:173]
	v_mul_f64 v[172:173], v[54:55], v[172:173]
	v_fma_f64 v[172:173], v[52:53], v[174:175], -v[172:173]
	;; [unrolled: 5-line block ×3, first 2 shown]
	v_mul_f64 v[170:171], v[50:51], v[166:167]
	v_mul_f64 v[192:193], v[54:55], v[162:163]
	s_waitcnt lgkmcnt(0)
	v_mul_f64 v[196:197], v[46:47], v[158:159]
	v_fmac_f64_e32 v[170:171], v[48:49], v[164:165]
	v_mul_f64 v[164:165], v[50:51], v[164:165]
	v_fmac_f64_e32 v[192:193], v[52:53], v[160:161]
	;; [unrolled: 2-line block ×3, first 2 shown]
	v_mul_f64 v[156:157], v[46:47], v[156:157]
	v_fma_f64 v[182:183], v[48:49], v[166:167], -v[164:165]
	v_fma_f64 v[194:195], v[52:53], v[162:163], -v[160:161]
	;; [unrolled: 1-line block ×3, first 2 shown]
	v_add_f64 v[164:165], v[152:153], -v[178:179]
	v_add_f64 v[162:163], v[180:181], -v[174:175]
	;; [unrolled: 1-line block ×3, first 2 shown]
	v_fma_f64 v[156:157], v[152:153], 2.0, -v[164:165]
	v_add_f64 v[160:161], v[176:177], -v[168:169]
	v_fma_f64 v[152:153], v[180:181], 2.0, -v[162:163]
	v_add_f64 v[178:179], v[150:151], -v[194:195]
	v_add_f64 v[180:181], v[182:183], -v[198:199]
	v_fma_f64 v[158:159], v[154:155], 2.0, -v[166:167]
	v_fma_f64 v[154:155], v[176:177], 2.0, -v[160:161]
	v_add_f64 v[176:177], v[148:149], -v[192:193]
	v_fma_f64 v[172:173], v[150:151], 2.0, -v[178:179]
	v_add_f64 v[174:175], v[170:171], -v[196:197]
	;; [unrolled: 2-line block ×3, first 2 shown]
	v_add_f64 v[154:155], v[158:159], -v[154:155]
	v_fma_f64 v[168:169], v[148:149], 2.0, -v[176:177]
	v_fma_f64 v[148:149], v[170:171], 2.0, -v[174:175]
	v_add_f64 v[150:151], v[172:173], -v[150:151]
	v_fma_f64 v[156:157], v[156:157], 2.0, -v[152:153]
	v_fma_f64 v[158:159], v[158:159], 2.0, -v[154:155]
	v_add_f64 v[160:161], v[164:165], v[160:161]
	v_add_f64 v[162:163], v[166:167], -v[162:163]
	v_add_f64 v[148:149], v[168:169], -v[148:149]
	v_fma_f64 v[170:171], v[172:173], 2.0, -v[150:151]
	v_add_f64 v[172:173], v[176:177], v[180:181]
	v_add_f64 v[174:175], v[178:179], -v[174:175]
	v_fma_f64 v[164:165], v[164:165], 2.0, -v[160:161]
	v_fma_f64 v[166:167], v[166:167], 2.0, -v[162:163]
	;; [unrolled: 1-line block ×5, first 2 shown]
	s_barrier
	ds_write_b128 v203, v[156:159]
	ds_write_b128 v203, v[164:167] offset:64
	ds_write_b128 v203, v[152:155] offset:128
	;; [unrolled: 1-line block ×3, first 2 shown]
	ds_write_b128 v205, v[168:171]
	ds_write_b128 v205, v[176:179] offset:64
	ds_write_b128 v205, v[148:151] offset:128
	;; [unrolled: 1-line block ×3, first 2 shown]
	s_and_saveexec_b64 s[0:1], s[2:3]
	s_cbranch_execz .LBB0_29
; %bb.28:
	v_mul_f64 v[148:149], v[54:55], v[140:141]
	v_fma_f64 v[148:149], v[52:53], v[142:143], -v[148:149]
	v_add_f64 v[154:155], v[42:43], -v[148:149]
	v_mul_f64 v[156:157], v[50:51], v[138:139]
	v_mul_f64 v[148:149], v[46:47], v[146:147]
	;; [unrolled: 1-line block ×5, first 2 shown]
	v_fmac_f64_e32 v[156:157], v[48:49], v[136:137]
	v_fmac_f64_e32 v[148:149], v[44:45], v[144:145]
	;; [unrolled: 1-line block ×3, first 2 shown]
	v_fma_f64 v[48:49], v[48:49], v[138:139], -v[50:51]
	v_fma_f64 v[44:45], v[44:45], v[146:147], -v[46:47]
	v_add_f64 v[158:159], v[156:157], -v[148:149]
	v_add_f64 v[52:53], v[40:41], -v[54:55]
	;; [unrolled: 1-line block ×3, first 2 shown]
	v_add_f64 v[146:147], v[52:53], v[44:45]
	v_fma_f64 v[46:47], v[42:43], 2.0, -v[154:155]
	v_fma_f64 v[42:43], v[48:49], 2.0, -v[44:45]
	;; [unrolled: 1-line block ×4, first 2 shown]
	s_movk_i32 s2, 0xff0
	v_add_f64 v[42:43], v[46:47], -v[42:43]
	v_add_f64 v[40:41], v[44:45], -v[40:41]
	v_and_or_b32 v48, v204, s2, v189
	v_add_f64 v[148:149], v[154:155], -v[158:159]
	v_fma_f64 v[46:47], v[46:47], 2.0, -v[42:43]
	v_fma_f64 v[44:45], v[44:45], 2.0, -v[40:41]
	v_lshlrev_b32_e32 v48, 4, v48
	v_fma_f64 v[152:153], v[154:155], 2.0, -v[148:149]
	v_fma_f64 v[150:151], v[52:53], 2.0, -v[146:147]
	ds_write_b128 v48, v[44:47]
	ds_write_b128 v48, v[150:153] offset:64
	ds_write_b128 v48, v[40:43] offset:128
	;; [unrolled: 1-line block ×3, first 2 shown]
.LBB0_29:
	s_or_b64 exec, exec, s[0:1]
	s_waitcnt lgkmcnt(0)
	s_barrier
	ds_read_b128 v[44:47], v184
	ds_read_b128 v[40:43], v184 offset:2816
	ds_read_b128 v[136:139], v184 offset:5632
	;; [unrolled: 1-line block ×10, first 2 shown]
	s_waitcnt lgkmcnt(9)
	v_mul_f64 v[172:173], v[70:71], v[42:43]
	v_fmac_f64_e32 v[172:173], v[68:69], v[40:41]
	v_mul_f64 v[40:41], v[70:71], v[40:41]
	v_fma_f64 v[70:71], v[68:69], v[42:43], -v[40:41]
	s_waitcnt lgkmcnt(8)
	v_mul_f64 v[174:175], v[66:67], v[138:139]
	v_mul_f64 v[40:41], v[66:67], v[136:137]
	v_fmac_f64_e32 v[174:175], v[64:65], v[136:137]
	v_fma_f64 v[136:137], v[64:65], v[138:139], -v[40:41]
	s_waitcnt lgkmcnt(7)
	v_mul_f64 v[138:139], v[62:63], v[142:143]
	v_mul_f64 v[40:41], v[62:63], v[140:141]
	v_fmac_f64_e32 v[138:139], v[60:61], v[140:141]
	v_fma_f64 v[140:141], v[60:61], v[142:143], -v[40:41]
	s_waitcnt lgkmcnt(6)
	v_mul_f64 v[40:41], v[58:59], v[144:145]
	v_mul_f64 v[62:63], v[58:59], v[146:147]
	v_fma_f64 v[64:65], v[56:57], v[146:147], -v[40:41]
	s_waitcnt lgkmcnt(5)
	v_mul_f64 v[40:41], v[86:87], v[148:149]
	v_fmac_f64_e32 v[62:63], v[56:57], v[144:145]
	v_fma_f64 v[56:57], v[84:85], v[150:151], -v[40:41]
	s_waitcnt lgkmcnt(4)
	v_mul_f64 v[40:41], v[82:83], v[152:153]
	v_fma_f64 v[60:61], v[80:81], v[154:155], -v[40:41]
	s_waitcnt lgkmcnt(3)
	v_mul_f64 v[66:67], v[78:79], v[158:159]
	v_mul_f64 v[40:41], v[78:79], v[156:157]
	v_fmac_f64_e32 v[66:67], v[76:77], v[156:157]
	v_fma_f64 v[68:69], v[76:77], v[158:159], -v[40:41]
	s_waitcnt lgkmcnt(2)
	v_mul_f64 v[76:77], v[74:75], v[162:163]
	v_mul_f64 v[40:41], v[74:75], v[160:161]
	v_fmac_f64_e32 v[76:77], v[72:73], v[160:161]
	v_fma_f64 v[72:73], v[72:73], v[162:163], -v[40:41]
	s_waitcnt lgkmcnt(1)
	v_mul_f64 v[40:41], v[94:95], v[164:165]
	v_fma_f64 v[78:79], v[92:93], v[166:167], -v[40:41]
	s_waitcnt lgkmcnt(0)
	v_mul_f64 v[40:41], v[90:91], v[168:169]
	v_mul_f64 v[58:59], v[82:83], v[154:155]
	v_fma_f64 v[82:83], v[88:89], v[170:171], -v[40:41]
	v_add_f64 v[40:41], v[44:45], v[172:173]
	v_add_f64 v[42:43], v[46:47], v[70:71]
	;; [unrolled: 1-line block ×4, first 2 shown]
	v_mul_f64 v[54:55], v[86:87], v[150:151]
	v_add_f64 v[40:41], v[40:41], v[138:139]
	v_add_f64 v[42:43], v[42:43], v[140:141]
	v_fmac_f64_e32 v[54:55], v[84:85], v[148:149]
	v_add_f64 v[40:41], v[40:41], v[62:63]
	v_add_f64 v[42:43], v[42:43], v[64:65]
	v_fmac_f64_e32 v[58:59], v[80:81], v[152:153]
	v_add_f64 v[40:41], v[40:41], v[54:55]
	v_add_f64 v[42:43], v[42:43], v[56:57]
	;; [unrolled: 1-line block ×4, first 2 shown]
	v_mad_u64_u32 v[50:51], s[0:1], s10, v190, 0
	v_mul_f64 v[74:75], v[94:95], v[166:167]
	v_add_f64 v[40:41], v[40:41], v[66:67]
	v_add_f64 v[42:43], v[42:43], v[68:69]
	v_fmac_f64_e32 v[74:75], v[92:93], v[164:165]
	v_mul_f64 v[80:81], v[90:91], v[170:171]
	v_add_f64 v[40:41], v[40:41], v[76:77]
	v_add_f64 v[42:43], v[42:43], v[72:73]
	s_mov_b32 s16, 0xf8bb580b
	s_mov_b32 s2, 0x8eee2c13
	;; [unrolled: 1-line block ×9, first 2 shown]
	v_fmac_f64_e32 v[80:81], v[88:89], v[168:169]
	v_add_f64 v[40:41], v[40:41], v[74:75]
	v_add_f64 v[42:43], v[42:43], v[78:79]
	v_add_f64 v[86:87], v[70:71], v[82:83]
	v_add_f64 v[70:71], v[70:71], -v[82:83]
	s_mov_b32 s17, 0xbfe14ced
	s_mov_b32 s3, 0xbfed1bb4
	;; [unrolled: 1-line block ×9, first 2 shown]
	v_mov_b32_e32 v48, s12
	v_mov_b32_e32 v49, s13
	v_add_f64 v[40:41], v[40:41], v[80:81]
	v_add_f64 v[42:43], v[42:43], v[82:83]
	;; [unrolled: 1-line block ×3, first 2 shown]
	v_add_f64 v[80:81], v[172:173], -v[80:81]
	v_mul_f64 v[82:83], v[70:71], s[16:17]
	v_mul_f64 v[90:91], v[86:87], s[18:19]
	s_mov_b32 s21, 0x3fe14ced
	s_mov_b32 s20, s16
	v_mul_f64 v[94:95], v[70:71], s[2:3]
	v_mul_f64 v[144:145], v[86:87], s[6:7]
	s_mov_b32 s13, 0x3fed1bb4
	s_mov_b32 s12, s2
	;; [unrolled: 4-line block ×5, first 2 shown]
	v_fma_f64 v[88:89], s[18:19], v[84:85], v[82:83]
	v_fma_f64 v[92:93], s[20:21], v[80:81], v[90:91]
	v_fma_f64 v[82:83], v[84:85], s[18:19], -v[82:83]
	v_fmac_f64_e32 v[90:91], s[16:17], v[80:81]
	v_fma_f64 v[142:143], s[6:7], v[84:85], v[94:95]
	v_fma_f64 v[146:147], s[12:13], v[80:81], v[144:145]
	v_fma_f64 v[94:95], v[84:85], s[6:7], -v[94:95]
	v_fmac_f64_e32 v[144:145], s[2:3], v[80:81]
	;; [unrolled: 4-line block ×5, first 2 shown]
	v_add_f64 v[80:81], v[136:137], v[78:79]
	v_add_f64 v[78:79], v[136:137], -v[78:79]
	v_add_f64 v[88:89], v[44:45], v[88:89]
	v_add_f64 v[82:83], v[44:45], v[82:83]
	;; [unrolled: 1-line block ×11, first 2 shown]
	v_mul_f64 v[84:85], v[78:79], s[2:3]
	v_add_f64 v[92:93], v[46:47], v[92:93]
	v_add_f64 v[90:91], v[46:47], v[90:91]
	;; [unrolled: 1-line block ×10, first 2 shown]
	v_fma_f64 v[86:87], s[6:7], v[70:71], v[84:85]
	v_add_f64 v[74:75], v[174:175], -v[74:75]
	v_add_f64 v[86:87], v[86:87], v[88:89]
	v_mul_f64 v[88:89], v[80:81], s[6:7]
	v_fma_f64 v[136:137], s[12:13], v[74:75], v[88:89]
	v_fma_f64 v[84:85], v[70:71], s[6:7], -v[84:85]
	v_fmac_f64_e32 v[88:89], s[2:3], v[74:75]
	v_add_f64 v[82:83], v[84:85], v[82:83]
	v_add_f64 v[84:85], v[88:89], v[90:91]
	v_mul_f64 v[88:89], v[78:79], s[24:25]
	v_add_f64 v[92:93], v[136:137], v[92:93]
	v_fma_f64 v[90:91], s[26:27], v[70:71], v[88:89]
	v_mul_f64 v[136:137], v[80:81], s[26:27]
	v_add_f64 v[90:91], v[90:91], v[142:143]
	v_fma_f64 v[142:143], s[28:29], v[74:75], v[136:137]
	v_fma_f64 v[88:89], v[70:71], s[26:27], -v[88:89]
	v_fmac_f64_e32 v[136:137], s[24:25], v[74:75]
	v_add_f64 v[88:89], v[88:89], v[94:95]
	v_add_f64 v[94:95], v[136:137], v[144:145]
	v_mul_f64 v[136:137], v[78:79], s[36:37]
	v_add_f64 v[142:143], v[142:143], v[146:147]
	v_fma_f64 v[144:145], s[34:35], v[70:71], v[136:137]
	v_mul_f64 v[146:147], v[80:81], s[34:35]
	v_fma_f64 v[136:137], v[70:71], s[34:35], -v[136:137]
	v_add_f64 v[144:145], v[144:145], v[150:151]
	v_fma_f64 v[150:151], s[30:31], v[74:75], v[146:147]
	v_add_f64 v[136:137], v[136:137], v[148:149]
	v_fmac_f64_e32 v[146:147], s[36:37], v[74:75]
	v_mul_f64 v[148:149], v[78:79], s[22:23]
	v_add_f64 v[150:151], v[150:151], v[154:155]
	v_add_f64 v[146:147], v[146:147], v[152:153]
	v_fma_f64 v[152:153], s[14:15], v[70:71], v[148:149]
	v_mul_f64 v[154:155], v[80:81], s[14:15]
	v_add_f64 v[152:153], v[152:153], v[158:159]
	v_fma_f64 v[158:159], s[0:1], v[74:75], v[154:155]
	v_fma_f64 v[148:149], v[70:71], s[14:15], -v[148:149]
	v_fmac_f64_e32 v[154:155], s[22:23], v[74:75]
	v_mul_f64 v[78:79], v[78:79], s[20:21]
	v_mul_f64 v[80:81], v[80:81], s[18:19]
	v_add_f64 v[148:149], v[148:149], v[156:157]
	v_add_f64 v[154:155], v[154:155], v[160:161]
	v_fma_f64 v[156:157], s[18:19], v[70:71], v[78:79]
	v_fma_f64 v[160:161], s[16:17], v[74:75], v[80:81]
	v_fma_f64 v[70:71], v[70:71], s[18:19], -v[78:79]
	v_fmac_f64_e32 v[80:81], s[20:21], v[74:75]
	v_add_f64 v[74:75], v[140:141], v[72:73]
	v_add_f64 v[72:73], v[140:141], -v[72:73]
	v_add_f64 v[44:45], v[70:71], v[44:45]
	v_add_f64 v[70:71], v[138:139], v[76:77]
	v_mul_f64 v[78:79], v[72:73], s[0:1]
	v_add_f64 v[46:47], v[80:81], v[46:47]
	v_fma_f64 v[80:81], s[14:15], v[70:71], v[78:79]
	v_add_f64 v[76:77], v[138:139], -v[76:77]
	v_add_f64 v[80:81], v[80:81], v[86:87]
	v_mul_f64 v[86:87], v[74:75], s[14:15]
	v_fma_f64 v[138:139], s[22:23], v[76:77], v[86:87]
	v_fma_f64 v[78:79], v[70:71], s[14:15], -v[78:79]
	v_fmac_f64_e32 v[86:87], s[0:1], v[76:77]
	v_add_f64 v[78:79], v[78:79], v[82:83]
	v_add_f64 v[82:83], v[86:87], v[84:85]
	v_mul_f64 v[84:85], v[72:73], s[36:37]
	v_fma_f64 v[86:87], s[34:35], v[70:71], v[84:85]
	v_add_f64 v[86:87], v[86:87], v[90:91]
	v_mul_f64 v[90:91], v[74:75], s[34:35]
	v_add_f64 v[92:93], v[138:139], v[92:93]
	v_fma_f64 v[138:139], s[30:31], v[76:77], v[90:91]
	v_fma_f64 v[84:85], v[70:71], s[34:35], -v[84:85]
	v_fmac_f64_e32 v[90:91], s[36:37], v[76:77]
	v_add_f64 v[84:85], v[84:85], v[88:89]
	v_add_f64 v[88:89], v[90:91], v[94:95]
	v_mul_f64 v[90:91], v[72:73], s[12:13]
	v_mul_f64 v[140:141], v[74:75], s[6:7]
	v_add_f64 v[138:139], v[138:139], v[142:143]
	v_fma_f64 v[94:95], s[6:7], v[70:71], v[90:91]
	v_fma_f64 v[142:143], s[2:3], v[76:77], v[140:141]
	v_fma_f64 v[90:91], v[70:71], s[6:7], -v[90:91]
	v_fmac_f64_e32 v[140:141], s[12:13], v[76:77]
	v_add_f64 v[90:91], v[90:91], v[136:137]
	v_add_f64 v[136:137], v[140:141], v[146:147]
	v_mul_f64 v[140:141], v[72:73], s[16:17]
	v_add_f64 v[94:95], v[94:95], v[144:145]
	v_fma_f64 v[144:145], s[18:19], v[70:71], v[140:141]
	v_fma_f64 v[140:141], v[70:71], s[18:19], -v[140:141]
	v_mul_f64 v[72:73], v[72:73], s[24:25]
	v_mul_f64 v[146:147], v[74:75], s[18:19]
	v_add_f64 v[140:141], v[140:141], v[148:149]
	v_fma_f64 v[148:149], s[26:27], v[70:71], v[72:73]
	v_mul_f64 v[74:75], v[74:75], s[26:27]
	v_fma_f64 v[70:71], v[70:71], s[26:27], -v[72:73]
	v_add_f64 v[72:73], v[64:65], v[68:69]
	v_add_f64 v[64:65], v[64:65], -v[68:69]
	v_add_f64 v[144:145], v[144:145], v[152:153]
	v_fma_f64 v[152:153], s[28:29], v[76:77], v[74:75]
	v_add_f64 v[44:45], v[70:71], v[44:45]
	v_fmac_f64_e32 v[74:75], s[24:25], v[76:77]
	v_add_f64 v[70:71], v[62:63], v[66:67]
	v_add_f64 v[62:63], v[62:63], -v[66:67]
	v_mul_f64 v[66:67], v[64:65], s[24:25]
	v_add_f64 v[46:47], v[74:75], v[46:47]
	v_fma_f64 v[68:69], s[26:27], v[70:71], v[66:67]
	v_mul_f64 v[74:75], v[72:73], s[26:27]
	v_fma_f64 v[66:67], v[70:71], s[26:27], -v[66:67]
	v_add_f64 v[142:143], v[142:143], v[150:151]
	v_fma_f64 v[150:151], s[20:21], v[76:77], v[146:147]
	v_fmac_f64_e32 v[146:147], s[16:17], v[76:77]
	v_fma_f64 v[76:77], s[28:29], v[62:63], v[74:75]
	v_add_f64 v[66:67], v[66:67], v[78:79]
	v_fmac_f64_e32 v[74:75], s[24:25], v[62:63]
	v_mul_f64 v[78:79], v[64:65], s[22:23]
	v_add_f64 v[68:69], v[68:69], v[80:81]
	v_add_f64 v[74:75], v[74:75], v[82:83]
	v_fma_f64 v[80:81], s[14:15], v[70:71], v[78:79]
	v_mul_f64 v[82:83], v[72:73], s[14:15]
	v_fma_f64 v[78:79], v[70:71], s[14:15], -v[78:79]
	v_add_f64 v[80:81], v[80:81], v[86:87]
	v_fma_f64 v[86:87], s[0:1], v[62:63], v[82:83]
	v_add_f64 v[78:79], v[78:79], v[84:85]
	v_fmac_f64_e32 v[82:83], s[22:23], v[62:63]
	v_mul_f64 v[84:85], v[64:65], s[16:17]
	v_add_f64 v[76:77], v[76:77], v[92:93]
	v_add_f64 v[82:83], v[82:83], v[88:89]
	v_fma_f64 v[88:89], s[18:19], v[70:71], v[84:85]
	v_mul_f64 v[92:93], v[72:73], s[18:19]
	v_add_f64 v[88:89], v[88:89], v[94:95]
	v_fma_f64 v[94:95], s[20:21], v[62:63], v[92:93]
	v_fma_f64 v[84:85], v[70:71], s[18:19], -v[84:85]
	v_fmac_f64_e32 v[92:93], s[16:17], v[62:63]
	v_add_f64 v[84:85], v[84:85], v[90:91]
	v_add_f64 v[90:91], v[92:93], v[136:137]
	v_mul_f64 v[92:93], v[64:65], s[30:31]
	v_add_f64 v[158:159], v[158:159], v[162:163]
	v_add_f64 v[156:157], v[156:157], v[164:165]
	;; [unrolled: 1-line block ×4, first 2 shown]
	v_fma_f64 v[136:137], s[34:35], v[70:71], v[92:93]
	v_mul_f64 v[138:139], v[72:73], s[34:35]
	v_mul_f64 v[72:73], v[72:73], s[6:7]
	v_add_f64 v[150:151], v[150:151], v[158:159]
	v_add_f64 v[148:149], v[148:149], v[156:157]
	;; [unrolled: 1-line block ×5, first 2 shown]
	v_fma_f64 v[142:143], s[36:37], v[62:63], v[138:139]
	v_fma_f64 v[92:93], v[70:71], s[34:35], -v[92:93]
	v_mul_f64 v[64:65], v[64:65], s[12:13]
	v_fma_f64 v[144:145], s[2:3], v[62:63], v[72:73]
	v_add_f64 v[156:157], v[56:57], -v[60:61]
	v_add_f64 v[146:147], v[146:147], v[154:155]
	v_add_f64 v[142:143], v[142:143], v[150:151]
	;; [unrolled: 1-line block ×3, first 2 shown]
	v_fmac_f64_e32 v[138:139], s[30:31], v[62:63]
	v_fma_f64 v[140:141], s[6:7], v[70:71], v[64:65]
	v_add_f64 v[144:145], v[144:145], v[152:153]
	v_fma_f64 v[64:65], v[70:71], s[6:7], -v[64:65]
	v_add_f64 v[150:151], v[54:55], v[58:59]
	v_add_f64 v[152:153], v[56:57], v[60:61]
	v_add_f64 v[154:155], v[54:55], -v[58:59]
	v_mul_f64 v[54:55], v[156:157], s[30:31]
	v_add_f64 v[138:139], v[138:139], v[146:147]
	v_add_f64 v[146:147], v[64:65], v[44:45]
	v_fmac_f64_e32 v[72:73], s[12:13], v[62:63]
	v_fma_f64 v[44:45], s[34:35], v[150:151], v[54:55]
	v_fma_f64 v[54:55], v[150:151], s[34:35], -v[54:55]
	v_mul_f64 v[62:63], v[156:157], s[20:21]
	v_mul_f64 v[64:65], v[152:153], s[18:19]
	;; [unrolled: 1-line block ×4, first 2 shown]
	v_add_f64 v[54:55], v[54:55], v[66:67]
	v_fma_f64 v[58:59], s[18:19], v[150:151], v[62:63]
	v_fma_f64 v[60:61], s[16:17], v[154:155], v[64:65]
	v_fma_f64 v[62:63], v[150:151], s[18:19], -v[62:63]
	v_fma_f64 v[66:67], s[26:27], v[150:151], v[70:71]
	v_add_f64 v[140:141], v[140:141], v[148:149]
	v_add_f64 v[148:149], v[72:73], v[46:47]
	v_fma_f64 v[46:47], s[36:37], v[154:155], v[56:57]
	v_fmac_f64_e32 v[56:57], s[30:31], v[154:155]
	v_add_f64 v[58:59], v[58:59], v[80:81]
	v_add_f64 v[60:61], v[60:61], v[86:87]
	;; [unrolled: 1-line block ×3, first 2 shown]
	v_fmac_f64_e32 v[64:65], s[20:21], v[154:155]
	v_add_f64 v[66:67], v[66:67], v[88:89]
	v_mul_f64 v[72:73], v[152:153], s[26:27]
	v_fma_f64 v[70:71], v[150:151], s[26:27], -v[70:71]
	v_mul_f64 v[78:79], v[156:157], s[12:13]
	v_mul_f64 v[80:81], v[152:153], s[6:7]
	;; [unrolled: 1-line block ×4, first 2 shown]
	v_add_f64 v[44:45], v[44:45], v[68:69]
	v_add_f64 v[46:47], v[46:47], v[76:77]
	v_add_f64 v[56:57], v[56:57], v[74:75]
	v_add_f64 v[64:65], v[64:65], v[82:83]
	v_fma_f64 v[68:69], s[28:29], v[154:155], v[72:73]
	v_add_f64 v[70:71], v[70:71], v[84:85]
	v_fmac_f64_e32 v[72:73], s[24:25], v[154:155]
	v_fma_f64 v[74:75], s[6:7], v[150:151], v[78:79]
	v_fma_f64 v[76:77], s[2:3], v[154:155], v[80:81]
	v_fma_f64 v[78:79], v[150:151], s[6:7], -v[78:79]
	v_fmac_f64_e32 v[80:81], s[12:13], v[154:155]
	v_fma_f64 v[82:83], s[14:15], v[150:151], v[86:87]
	v_fma_f64 v[84:85], s[22:23], v[154:155], v[88:89]
	v_fma_f64 v[86:87], v[150:151], s[14:15], -v[86:87]
	v_fmac_f64_e32 v[88:89], s[0:1], v[154:155]
	v_add_f64 v[68:69], v[68:69], v[94:95]
	v_add_f64 v[72:73], v[72:73], v[90:91]
	;; [unrolled: 1-line block ×10, first 2 shown]
	s_barrier
	ds_write_b128 v206, v[40:43]
	ds_write_b128 v206, v[44:47] offset:256
	ds_write_b128 v206, v[58:61] offset:512
	;; [unrolled: 1-line block ×10, first 2 shown]
	s_waitcnt lgkmcnt(0)
	s_barrier
	ds_read_b128 v[58:61], v184
	ds_read_b128 v[40:43], v184 offset:2816
	ds_read_b128 v[44:47], v184 offset:5632
	;; [unrolled: 1-line block ×10, first 2 shown]
	s_waitcnt lgkmcnt(9)
	v_mul_f64 v[90:91], v[110:111], v[42:43]
	v_fmac_f64_e32 v[90:91], v[108:109], v[40:41]
	v_mul_f64 v[40:41], v[110:111], v[40:41]
	v_fma_f64 v[92:93], v[108:109], v[42:43], -v[40:41]
	s_waitcnt lgkmcnt(8)
	v_mul_f64 v[94:95], v[106:107], v[46:47]
	v_mul_f64 v[40:41], v[106:107], v[44:45]
	v_fmac_f64_e32 v[94:95], v[104:105], v[44:45]
	v_fma_f64 v[104:105], v[104:105], v[46:47], -v[40:41]
	s_waitcnt lgkmcnt(7)
	v_mul_f64 v[106:107], v[102:103], v[56:57]
	v_mul_f64 v[40:41], v[102:103], v[54:55]
	v_fmac_f64_e32 v[106:107], v[100:101], v[54:55]
	;; [unrolled: 5-line block ×3, first 2 shown]
	v_fma_f64 v[62:63], v[96:97], v[64:65], -v[40:41]
	s_waitcnt lgkmcnt(5)
	v_mul_f64 v[40:41], v[126:127], v[66:67]
	v_fma_f64 v[46:47], v[124:125], v[68:69], -v[40:41]
	s_waitcnt lgkmcnt(4)
	v_mul_f64 v[40:41], v[122:123], v[70:71]
	v_mul_f64 v[44:45], v[126:127], v[68:69]
	v_fma_f64 v[56:57], v[120:121], v[72:73], -v[40:41]
	s_waitcnt lgkmcnt(3)
	v_mul_f64 v[40:41], v[118:119], v[74:75]
	v_fmac_f64_e32 v[44:45], v[124:125], v[66:67]
	v_mul_f64 v[54:55], v[122:123], v[72:73]
	v_fma_f64 v[66:67], v[116:117], v[76:77], -v[40:41]
	s_waitcnt lgkmcnt(2)
	v_mul_f64 v[40:41], v[114:115], v[78:79]
	v_add_f64 v[42:43], v[60:61], v[92:93]
	v_fmac_f64_e32 v[54:55], v[120:121], v[70:71]
	v_mul_f64 v[64:65], v[118:119], v[76:77]
	v_fma_f64 v[70:71], v[112:113], v[80:81], -v[40:41]
	s_waitcnt lgkmcnt(1)
	v_mul_f64 v[40:41], v[134:135], v[82:83]
	v_add_f64 v[42:43], v[42:43], v[104:105]
	;; [unrolled: 6-line block ×3, first 2 shown]
	v_fmac_f64_e32 v[68:69], v[112:113], v[78:79]
	v_fma_f64 v[78:79], v[128:129], v[88:89], -v[40:41]
	v_add_f64 v[40:41], v[58:59], v[90:91]
	v_add_f64 v[42:43], v[42:43], v[62:63]
	;; [unrolled: 1-line block ×10, first 2 shown]
	v_mul_f64 v[72:73], v[134:135], v[84:85]
	v_mul_f64 v[76:77], v[130:131], v[88:89]
	v_add_f64 v[40:41], v[40:41], v[54:55]
	v_add_f64 v[42:43], v[42:43], v[74:75]
	v_fmac_f64_e32 v[72:73], v[132:133], v[82:83]
	v_fmac_f64_e32 v[76:77], v[128:129], v[86:87]
	v_add_f64 v[40:41], v[40:41], v[64:65]
	v_add_f64 v[42:43], v[42:43], v[78:79]
	;; [unrolled: 1-line block ×3, first 2 shown]
	v_add_f64 v[78:79], v[92:93], -v[78:79]
	v_add_f64 v[40:41], v[40:41], v[68:69]
	v_add_f64 v[80:81], v[90:91], v[76:77]
	v_mul_f64 v[84:85], v[78:79], s[16:17]
	v_mul_f64 v[92:93], v[78:79], s[2:3]
	;; [unrolled: 1-line block ×5, first 2 shown]
	v_add_f64 v[40:41], v[40:41], v[72:73]
	v_fma_f64 v[86:87], s[18:19], v[80:81], v[84:85]
	v_fma_f64 v[84:85], v[80:81], s[18:19], -v[84:85]
	v_fma_f64 v[96:97], s[6:7], v[80:81], v[92:93]
	v_fma_f64 v[92:93], v[80:81], s[6:7], -v[92:93]
	;; [unrolled: 2-line block ×5, first 2 shown]
	v_add_f64 v[40:41], v[40:41], v[76:77]
	v_add_f64 v[76:77], v[90:91], -v[76:77]
	v_add_f64 v[86:87], v[58:59], v[86:87]
	v_mul_f64 v[88:89], v[82:83], s[18:19]
	v_add_f64 v[84:85], v[58:59], v[84:85]
	v_add_f64 v[96:97], v[58:59], v[96:97]
	v_mul_f64 v[98:99], v[82:83], s[6:7]
	v_add_f64 v[92:93], v[58:59], v[92:93]
	;; [unrolled: 3-line block ×5, first 2 shown]
	v_add_f64 v[78:79], v[104:105], v[74:75]
	v_add_f64 v[74:75], v[104:105], -v[74:75]
	v_fma_f64 v[90:91], s[20:21], v[76:77], v[88:89]
	v_fmac_f64_e32 v[88:89], s[16:17], v[76:77]
	v_fma_f64 v[108:109], s[12:13], v[76:77], v[98:99]
	v_fmac_f64_e32 v[98:99], s[2:3], v[76:77]
	;; [unrolled: 2-line block ×5, first 2 shown]
	v_add_f64 v[76:77], v[94:95], v[72:73]
	v_mul_f64 v[80:81], v[74:75], s[2:3]
	v_add_f64 v[90:91], v[60:61], v[90:91]
	v_add_f64 v[88:89], v[60:61], v[88:89]
	;; [unrolled: 1-line block ×10, first 2 shown]
	v_fma_f64 v[82:83], s[6:7], v[76:77], v[80:81]
	v_add_f64 v[72:73], v[94:95], -v[72:73]
	v_add_f64 v[82:83], v[82:83], v[86:87]
	v_mul_f64 v[86:87], v[78:79], s[6:7]
	v_fma_f64 v[94:95], s[12:13], v[72:73], v[86:87]
	v_fma_f64 v[80:81], v[76:77], s[6:7], -v[80:81]
	v_fmac_f64_e32 v[86:87], s[2:3], v[72:73]
	v_add_f64 v[80:81], v[80:81], v[84:85]
	v_add_f64 v[84:85], v[86:87], v[88:89]
	v_mul_f64 v[86:87], v[74:75], s[24:25]
	v_add_f64 v[90:91], v[94:95], v[90:91]
	v_fma_f64 v[88:89], s[26:27], v[76:77], v[86:87]
	v_mul_f64 v[94:95], v[78:79], s[26:27]
	v_add_f64 v[88:89], v[88:89], v[96:97]
	v_fma_f64 v[96:97], s[28:29], v[72:73], v[94:95]
	v_fma_f64 v[86:87], v[76:77], s[26:27], -v[86:87]
	v_fmac_f64_e32 v[94:95], s[24:25], v[72:73]
	v_add_f64 v[86:87], v[86:87], v[92:93]
	v_add_f64 v[92:93], v[94:95], v[98:99]
	v_mul_f64 v[94:95], v[74:75], s[36:37]
	v_fma_f64 v[98:99], s[34:35], v[76:77], v[94:95]
	v_fma_f64 v[94:95], v[76:77], s[34:35], -v[94:95]
	v_add_f64 v[94:95], v[94:95], v[110:111]
	v_mul_f64 v[110:111], v[74:75], s[22:23]
	v_add_f64 v[98:99], v[98:99], v[112:113]
	v_mul_f64 v[104:105], v[78:79], s[34:35]
	v_fma_f64 v[112:113], s[14:15], v[76:77], v[110:111]
	v_fma_f64 v[110:111], v[76:77], s[14:15], -v[110:111]
	v_mul_f64 v[74:75], v[74:75], s[20:21]
	v_add_f64 v[96:97], v[96:97], v[108:109]
	v_fma_f64 v[108:109], s[30:31], v[72:73], v[104:105]
	v_fmac_f64_e32 v[104:105], s[36:37], v[72:73]
	v_add_f64 v[110:111], v[110:111], v[118:119]
	v_fma_f64 v[118:119], s[18:19], v[76:77], v[74:75]
	v_fma_f64 v[74:75], v[76:77], s[18:19], -v[74:75]
	v_add_f64 v[104:105], v[104:105], v[114:115]
	v_mul_f64 v[114:115], v[78:79], s[14:15]
	v_mul_f64 v[78:79], v[78:79], s[18:19]
	v_add_f64 v[58:59], v[74:75], v[58:59]
	v_add_f64 v[74:75], v[100:101], v[70:71]
	v_add_f64 v[70:71], v[100:101], -v[70:71]
	v_add_f64 v[108:109], v[108:109], v[116:117]
	v_add_f64 v[112:113], v[112:113], v[120:121]
	v_fma_f64 v[116:117], s[0:1], v[72:73], v[114:115]
	v_fmac_f64_e32 v[114:115], s[22:23], v[72:73]
	v_fma_f64 v[120:121], s[16:17], v[72:73], v[78:79]
	v_fmac_f64_e32 v[78:79], s[20:21], v[72:73]
	v_add_f64 v[72:73], v[106:107], v[68:69]
	v_mul_f64 v[76:77], v[70:71], s[0:1]
	v_add_f64 v[60:61], v[78:79], v[60:61]
	v_fma_f64 v[78:79], s[14:15], v[72:73], v[76:77]
	v_add_f64 v[68:69], v[106:107], -v[68:69]
	v_add_f64 v[78:79], v[78:79], v[82:83]
	v_mul_f64 v[82:83], v[74:75], s[14:15]
	v_fma_f64 v[100:101], s[22:23], v[68:69], v[82:83]
	v_fma_f64 v[76:77], v[72:73], s[14:15], -v[76:77]
	v_fmac_f64_e32 v[82:83], s[0:1], v[68:69]
	v_add_f64 v[76:77], v[76:77], v[80:81]
	v_add_f64 v[80:81], v[82:83], v[84:85]
	v_mul_f64 v[82:83], v[70:71], s[36:37]
	v_fma_f64 v[84:85], s[34:35], v[72:73], v[82:83]
	v_add_f64 v[84:85], v[84:85], v[88:89]
	v_mul_f64 v[88:89], v[74:75], s[34:35]
	v_add_f64 v[90:91], v[100:101], v[90:91]
	v_fma_f64 v[100:101], s[30:31], v[68:69], v[88:89]
	v_fma_f64 v[82:83], v[72:73], s[34:35], -v[82:83]
	v_fmac_f64_e32 v[88:89], s[36:37], v[68:69]
	v_add_f64 v[82:83], v[82:83], v[86:87]
	v_add_f64 v[86:87], v[88:89], v[92:93]
	v_mul_f64 v[88:89], v[70:71], s[12:13]
	v_fma_f64 v[92:93], s[6:7], v[72:73], v[88:89]
	v_add_f64 v[92:93], v[92:93], v[98:99]
	v_mul_f64 v[98:99], v[74:75], s[6:7]
	v_add_f64 v[96:97], v[100:101], v[96:97]
	v_fma_f64 v[100:101], s[2:3], v[68:69], v[98:99]
	v_fma_f64 v[88:89], v[72:73], s[6:7], -v[88:89]
	v_fmac_f64_e32 v[98:99], s[12:13], v[68:69]
	v_add_f64 v[88:89], v[88:89], v[94:95]
	v_add_f64 v[94:95], v[98:99], v[104:105]
	v_mul_f64 v[98:99], v[70:71], s[16:17]
	v_fma_f64 v[104:105], s[18:19], v[72:73], v[98:99]
	v_fma_f64 v[98:99], v[72:73], s[18:19], -v[98:99]
	v_mul_f64 v[70:71], v[70:71], s[24:25]
	v_add_f64 v[98:99], v[98:99], v[110:111]
	v_fma_f64 v[110:111], s[26:27], v[72:73], v[70:71]
	v_fma_f64 v[70:71], v[72:73], s[26:27], -v[70:71]
	v_mul_f64 v[106:107], v[74:75], s[18:19]
	v_mul_f64 v[74:75], v[74:75], s[26:27]
	v_add_f64 v[58:59], v[70:71], v[58:59]
	v_add_f64 v[70:71], v[62:63], v[66:67]
	v_add_f64 v[62:63], v[62:63], -v[66:67]
	v_add_f64 v[100:101], v[100:101], v[108:109]
	v_add_f64 v[104:105], v[104:105], v[112:113]
	v_fma_f64 v[108:109], s[20:21], v[68:69], v[106:107]
	v_fmac_f64_e32 v[106:107], s[16:17], v[68:69]
	v_fma_f64 v[112:113], s[28:29], v[68:69], v[74:75]
	v_fmac_f64_e32 v[74:75], s[24:25], v[68:69]
	v_add_f64 v[68:69], v[102:103], v[64:65]
	v_mul_f64 v[66:67], v[62:63], s[24:25]
	v_add_f64 v[60:61], v[74:75], v[60:61]
	v_add_f64 v[64:65], v[102:103], -v[64:65]
	v_fma_f64 v[72:73], s[26:27], v[68:69], v[66:67]
	v_mul_f64 v[74:75], v[70:71], s[26:27]
	v_fma_f64 v[66:67], v[68:69], s[26:27], -v[66:67]
	v_add_f64 v[72:73], v[72:73], v[78:79]
	v_fma_f64 v[78:79], s[28:29], v[64:65], v[74:75]
	v_add_f64 v[66:67], v[66:67], v[76:77]
	v_fmac_f64_e32 v[74:75], s[24:25], v[64:65]
	v_mul_f64 v[76:77], v[62:63], s[22:23]
	v_add_f64 v[74:75], v[74:75], v[80:81]
	v_fma_f64 v[80:81], s[14:15], v[68:69], v[76:77]
	v_add_f64 v[80:81], v[80:81], v[84:85]
	v_mul_f64 v[84:85], v[70:71], s[14:15]
	v_add_f64 v[78:79], v[78:79], v[90:91]
	v_fma_f64 v[90:91], s[0:1], v[64:65], v[84:85]
	v_fma_f64 v[76:77], v[68:69], s[14:15], -v[76:77]
	v_fmac_f64_e32 v[84:85], s[22:23], v[64:65]
	v_add_f64 v[76:77], v[76:77], v[82:83]
	v_add_f64 v[82:83], v[84:85], v[86:87]
	v_mul_f64 v[84:85], v[62:63], s[16:17]
	v_fma_f64 v[86:87], s[18:19], v[68:69], v[84:85]
	v_add_f64 v[86:87], v[86:87], v[92:93]
	v_mul_f64 v[92:93], v[70:71], s[18:19]
	v_add_f64 v[90:91], v[90:91], v[96:97]
	v_fma_f64 v[96:97], s[20:21], v[64:65], v[92:93]
	v_fma_f64 v[84:85], v[68:69], s[18:19], -v[84:85]
	v_fmac_f64_e32 v[92:93], s[16:17], v[64:65]
	v_add_f64 v[114:115], v[114:115], v[122:123]
	v_add_f64 v[96:97], v[96:97], v[100:101]
	;; [unrolled: 1-line block ×4, first 2 shown]
	v_mul_f64 v[92:93], v[62:63], s[30:31]
	v_mul_f64 v[100:101], v[70:71], s[34:35]
	v_add_f64 v[116:117], v[116:117], v[124:125]
	v_add_f64 v[118:119], v[118:119], v[126:127]
	;; [unrolled: 1-line block ×3, first 2 shown]
	v_fma_f64 v[94:95], s[34:35], v[68:69], v[92:93]
	v_fma_f64 v[102:103], s[36:37], v[64:65], v[100:101]
	v_fma_f64 v[92:93], v[68:69], s[34:35], -v[92:93]
	v_fmac_f64_e32 v[100:101], s[30:31], v[64:65]
	v_mul_f64 v[62:63], v[62:63], s[12:13]
	v_add_f64 v[120:121], v[120:121], v[128:129]
	v_add_f64 v[108:109], v[108:109], v[116:117]
	;; [unrolled: 1-line block ×5, first 2 shown]
	v_fma_f64 v[100:101], s[6:7], v[68:69], v[62:63]
	v_mul_f64 v[70:71], v[70:71], s[6:7]
	v_add_f64 v[116:117], v[46:47], -v[56:57]
	v_add_f64 v[112:113], v[112:113], v[120:121]
	v_add_f64 v[94:95], v[94:95], v[104:105]
	;; [unrolled: 1-line block ×3, first 2 shown]
	v_fma_f64 v[104:105], s[2:3], v[64:65], v[70:71]
	v_add_f64 v[110:111], v[44:45], v[54:55]
	v_add_f64 v[114:115], v[44:45], -v[54:55]
	v_mul_f64 v[54:55], v[116:117], s[30:31]
	v_add_f64 v[104:105], v[104:105], v[112:113]
	v_fma_f64 v[62:63], v[68:69], s[6:7], -v[62:63]
	v_fmac_f64_e32 v[70:71], s[12:13], v[64:65]
	v_add_f64 v[112:113], v[46:47], v[56:57]
	v_fma_f64 v[44:45], s[34:35], v[110:111], v[54:55]
	v_add_f64 v[102:103], v[102:103], v[108:109]
	v_add_f64 v[106:107], v[62:63], v[58:59]
	;; [unrolled: 1-line block ×4, first 2 shown]
	v_mul_f64 v[56:57], v[112:113], s[34:35]
	v_fma_f64 v[54:55], v[110:111], s[34:35], -v[54:55]
	v_mul_f64 v[62:63], v[116:117], s[20:21]
	v_mul_f64 v[70:71], v[116:117], s[24:25]
	;; [unrolled: 1-line block ×3, first 2 shown]
	v_fma_f64 v[46:47], s[36:37], v[114:115], v[56:57]
	v_add_f64 v[54:55], v[54:55], v[66:67]
	v_fma_f64 v[58:59], s[18:19], v[110:111], v[62:63]
	v_mul_f64 v[64:65], v[112:113], s[18:19]
	v_fma_f64 v[66:67], s[26:27], v[110:111], v[70:71]
	v_fma_f64 v[68:69], s[28:29], v[114:115], v[72:73]
	v_fmac_f64_e32 v[72:73], s[24:25], v[114:115]
	v_add_f64 v[46:47], v[46:47], v[78:79]
	v_fmac_f64_e32 v[56:57], s[30:31], v[114:115]
	v_add_f64 v[58:59], v[58:59], v[80:81]
	v_fma_f64 v[60:61], s[16:17], v[114:115], v[64:65]
	v_fma_f64 v[62:63], v[110:111], s[18:19], -v[62:63]
	v_fmac_f64_e32 v[64:65], s[20:21], v[114:115]
	v_add_f64 v[66:67], v[66:67], v[86:87]
	v_fma_f64 v[70:71], v[110:111], s[26:27], -v[70:71]
	v_add_f64 v[72:73], v[72:73], v[88:89]
	v_mul_f64 v[78:79], v[116:117], s[12:13]
	v_mul_f64 v[80:81], v[112:113], s[6:7]
	;; [unrolled: 1-line block ×4, first 2 shown]
	v_add_f64 v[56:57], v[56:57], v[74:75]
	v_add_f64 v[62:63], v[62:63], v[76:77]
	;; [unrolled: 1-line block ×4, first 2 shown]
	v_fma_f64 v[74:75], s[6:7], v[110:111], v[78:79]
	v_fma_f64 v[76:77], s[2:3], v[114:115], v[80:81]
	v_fma_f64 v[78:79], v[110:111], s[6:7], -v[78:79]
	v_fmac_f64_e32 v[80:81], s[12:13], v[114:115]
	v_fma_f64 v[82:83], s[14:15], v[110:111], v[86:87]
	v_fma_f64 v[84:85], s[22:23], v[114:115], v[88:89]
	v_fma_f64 v[86:87], v[110:111], s[14:15], -v[86:87]
	v_fmac_f64_e32 v[88:89], s[0:1], v[114:115]
	v_add_f64 v[60:61], v[60:61], v[90:91]
	v_add_f64 v[68:69], v[68:69], v[96:97]
	;; [unrolled: 1-line block ×10, first 2 shown]
	ds_write_b128 v184, v[40:43]
	ds_write_b128 v184, v[44:47] offset:2816
	ds_write_b128 v184, v[58:61] offset:5632
	;; [unrolled: 1-line block ×10, first 2 shown]
	s_waitcnt lgkmcnt(0)
	s_barrier
	ds_read_b128 v[40:43], v184
	v_mov_b32_e32 v52, v51
	v_mad_u64_u32 v[44:45], s[0:1], s11, v190, v[52:53]
	v_mov_b32_e32 v51, v44
	ds_read_b128 v[44:47], v184 offset:2816
	s_waitcnt lgkmcnt(1)
	v_mul_f64 v[52:53], v[22:23], v[42:43]
	s_mov_b32 s0, 0x6be69c90
	v_mul_f64 v[22:23], v[22:23], v[40:41]
	v_fmac_f64_e32 v[52:53], v[20:21], v[40:41]
	s_mov_b32 s1, 0x3f40ecf5
	v_fma_f64 v[20:21], v[20:21], v[42:43], -v[22:23]
	v_mad_u64_u32 v[40:41], s[2:3], s8, v188, 0
	v_mul_f64 v[54:55], v[20:21], s[0:1]
	v_mov_b32_e32 v20, v41
	v_mad_u64_u32 v[20:21], s[2:3], s9, v188, v[20:21]
	v_mov_b32_e32 v41, v20
	ds_read_b128 v[20:23], v184 offset:15488
	v_lshl_add_u64 v[42:43], v[50:51], 4, v[48:49]
	v_lshl_add_u64 v[56:57], v[40:41], 4, v[42:43]
	ds_read_b128 v[40:43], v184 offset:11264
	s_mul_i32 s2, s9, 0x3c8
	s_waitcnt lgkmcnt(1)
	v_mul_f64 v[48:49], v[2:3], v[22:23]
	v_mul_f64 v[2:3], v[2:3], v[20:21]
	v_fmac_f64_e32 v[48:49], v[0:1], v[20:21]
	v_fma_f64 v[0:1], v[0:1], v[22:23], -v[2:3]
	v_mul_f64 v[50:51], v[0:1], s[0:1]
	v_mul_f64 v[0:1], v[6:7], v[46:47]
	;; [unrolled: 1-line block ×3, first 2 shown]
	s_mul_hi_u32 s3, s8, 0x3c8
	v_fmac_f64_e32 v[0:1], v[4:5], v[44:45]
	v_fma_f64 v[2:3], v[4:5], v[46:47], -v[2:3]
	s_mul_hi_u32 s7, s8, 0xfffffce8
	ds_read_b128 v[4:7], v184 offset:18304
	s_add_i32 s3, s3, s2
	s_mul_i32 s2, s8, 0x3c8
	s_mul_i32 s6, s9, 0xfffffce8
	s_sub_i32 s7, s7, s8
	s_lshl_b64 s[10:11], s[2:3], 4
	s_add_i32 s7, s7, s6
	s_mul_i32 s6, s8, 0xfffffce8
	v_lshl_add_u64 v[20:21], v[56:57], 0, s[10:11]
	s_lshl_b64 s[8:9], s[6:7], 4
	v_mul_f64 v[52:53], v[52:53], s[0:1]
	v_mul_f64 v[48:49], v[48:49], s[0:1]
	;; [unrolled: 1-line block ×4, first 2 shown]
	v_lshl_add_u64 v[44:45], v[20:21], 0, s[8:9]
	global_store_dwordx4 v[56:57], v[52:55], off
	global_store_dwordx4 v[20:21], v[48:51], off
	;; [unrolled: 1-line block ×3, first 2 shown]
	ds_read_b128 v[0:3], v184 offset:21120
	s_waitcnt lgkmcnt(1)
	v_mul_f64 v[20:21], v[10:11], v[6:7]
	v_fmac_f64_e32 v[20:21], v[8:9], v[4:5]
	v_mul_f64 v[4:5], v[10:11], v[4:5]
	v_fma_f64 v[8:9], v[8:9], v[6:7], -v[4:5]
	ds_read_b128 v[4:7], v184 offset:5632
	v_mul_f64 v[20:21], v[20:21], s[0:1]
	v_mul_f64 v[22:23], v[8:9], s[0:1]
	ds_read_b128 v[8:11], v184 offset:8448
	v_lshl_add_u64 v[44:45], v[44:45], 0, s[10:11]
	global_store_dwordx4 v[44:45], v[20:23], off
	s_waitcnt lgkmcnt(1)
	s_nop 0
	v_mul_f64 v[20:21], v[14:15], v[6:7]
	v_fmac_f64_e32 v[20:21], v[12:13], v[4:5]
	v_mul_f64 v[4:5], v[14:15], v[4:5]
	v_fma_f64 v[4:5], v[12:13], v[6:7], -v[4:5]
	v_mul_f64 v[22:23], v[4:5], s[0:1]
	v_mul_f64 v[4:5], v[18:19], v[2:3]
	v_fmac_f64_e32 v[4:5], v[16:17], v[0:1]
	v_mul_f64 v[0:1], v[18:19], v[0:1]
	v_mul_f64 v[20:21], v[20:21], s[0:1]
	v_lshl_add_u64 v[12:13], v[44:45], 0, s[8:9]
	v_fma_f64 v[0:1], v[16:17], v[2:3], -v[0:1]
	global_store_dwordx4 v[12:13], v[20:23], off
	v_mul_f64 v[4:5], v[4:5], s[0:1]
	v_mul_f64 v[6:7], v[0:1], s[0:1]
	v_lshl_add_u64 v[12:13], v[12:13], 0, s[10:11]
	global_store_dwordx4 v[12:13], v[4:7], off
	ds_read_b128 v[4:7], v184 offset:23936
	s_waitcnt lgkmcnt(1)
	v_mul_f64 v[0:1], v[30:31], v[10:11]
	v_mul_f64 v[2:3], v[30:31], v[8:9]
	v_fmac_f64_e32 v[0:1], v[28:29], v[8:9]
	v_fma_f64 v[2:3], v[28:29], v[10:11], -v[2:3]
	v_mul_f64 v[0:1], v[0:1], s[0:1]
	v_mul_f64 v[2:3], v[2:3], s[0:1]
	v_lshl_add_u64 v[12:13], v[12:13], 0, s[8:9]
	global_store_dwordx4 v[12:13], v[0:3], off
	ds_read_b128 v[0:3], v184 offset:26752
	s_waitcnt lgkmcnt(1)
	v_mul_f64 v[8:9], v[26:27], v[6:7]
	v_fmac_f64_e32 v[8:9], v[24:25], v[4:5]
	v_mul_f64 v[4:5], v[26:27], v[4:5]
	v_fma_f64 v[4:5], v[24:25], v[6:7], -v[4:5]
	v_mul_f64 v[10:11], v[4:5], s[0:1]
	v_mul_f64 v[4:5], v[34:35], v[42:43]
	;; [unrolled: 1-line block ×4, first 2 shown]
	v_lshl_add_u64 v[12:13], v[12:13], 0, s[10:11]
	v_fmac_f64_e32 v[4:5], v[32:33], v[40:41]
	v_fma_f64 v[6:7], v[32:33], v[42:43], -v[6:7]
	global_store_dwordx4 v[12:13], v[8:11], off
	v_mul_f64 v[4:5], v[4:5], s[0:1]
	v_mul_f64 v[6:7], v[6:7], s[0:1]
	v_lshl_add_u64 v[8:9], v[12:13], 0, s[8:9]
	global_store_dwordx4 v[8:9], v[4:7], off
	s_waitcnt lgkmcnt(0)
	s_nop 0
	v_mul_f64 v[4:5], v[38:39], v[2:3]
	v_fmac_f64_e32 v[4:5], v[36:37], v[0:1]
	v_mul_f64 v[0:1], v[38:39], v[0:1]
	v_fma_f64 v[0:1], v[36:37], v[2:3], -v[0:1]
	v_mul_f64 v[4:5], v[4:5], s[0:1]
	v_mul_f64 v[6:7], v[0:1], s[0:1]
	v_lshl_add_u64 v[0:1], v[8:9], 0, s[10:11]
	global_store_dwordx4 v[0:1], v[4:7], off
	s_and_b64 exec, exec, s[4:5]
	s_cbranch_execz .LBB0_31
; %bb.30:
	v_add_co_u32_e32 v2, vcc, 0x3000, v186
	s_movk_i32 s4, 0x7000
	s_nop 0
	v_addc_co_u32_e32 v3, vcc, 0, v187, vcc
	v_add_co_u32_e32 v6, vcc, s4, v186
	global_load_dwordx4 v[2:5], v[2:3], off offset:1792
	s_nop 0
	v_addc_co_u32_e32 v7, vcc, 0, v187, vcc
	global_load_dwordx4 v[6:9], v[6:7], off offset:896
	ds_read_b128 v[10:13], v184 offset:14080
	ds_read_b128 v[14:17], v184 offset:29568
	v_lshl_add_u64 v[18:19], s[6:7], 4, v[0:1]
	v_lshl_add_u64 v[20:21], s[2:3], 4, v[18:19]
	s_waitcnt vmcnt(1) lgkmcnt(1)
	v_mul_f64 v[0:1], v[12:13], v[4:5]
	v_mul_f64 v[4:5], v[10:11], v[4:5]
	v_fmac_f64_e32 v[0:1], v[10:11], v[2:3]
	s_waitcnt vmcnt(0) lgkmcnt(0)
	v_mul_f64 v[22:23], v[16:17], v[8:9]
	v_mul_f64 v[8:9], v[14:15], v[8:9]
	v_fma_f64 v[2:3], v[2:3], v[12:13], -v[4:5]
	v_fmac_f64_e32 v[22:23], v[14:15], v[6:7]
	v_fma_f64 v[6:7], v[6:7], v[16:17], -v[8:9]
	v_mul_f64 v[0:1], v[0:1], s[0:1]
	v_mul_f64 v[2:3], v[2:3], s[0:1]
	;; [unrolled: 1-line block ×4, first 2 shown]
	global_store_dwordx4 v[18:19], v[0:3], off
	global_store_dwordx4 v[20:21], v[4:7], off
.LBB0_31:
	s_endpgm
	.section	.rodata,"a",@progbits
	.p2align	6, 0x0
	.amdhsa_kernel bluestein_single_back_len1936_dim1_dp_op_CI_CI
		.amdhsa_group_segment_fixed_size 30976
		.amdhsa_private_segment_fixed_size 0
		.amdhsa_kernarg_size 104
		.amdhsa_user_sgpr_count 2
		.amdhsa_user_sgpr_dispatch_ptr 0
		.amdhsa_user_sgpr_queue_ptr 0
		.amdhsa_user_sgpr_kernarg_segment_ptr 1
		.amdhsa_user_sgpr_dispatch_id 0
		.amdhsa_user_sgpr_kernarg_preload_length 0
		.amdhsa_user_sgpr_kernarg_preload_offset 0
		.amdhsa_user_sgpr_private_segment_size 0
		.amdhsa_uses_dynamic_stack 0
		.amdhsa_enable_private_segment 0
		.amdhsa_system_sgpr_workgroup_id_x 1
		.amdhsa_system_sgpr_workgroup_id_y 0
		.amdhsa_system_sgpr_workgroup_id_z 0
		.amdhsa_system_sgpr_workgroup_info 0
		.amdhsa_system_vgpr_workitem_id 0
		.amdhsa_next_free_vgpr 248
		.amdhsa_next_free_sgpr 44
		.amdhsa_accum_offset 248
		.amdhsa_reserve_vcc 1
		.amdhsa_float_round_mode_32 0
		.amdhsa_float_round_mode_16_64 0
		.amdhsa_float_denorm_mode_32 3
		.amdhsa_float_denorm_mode_16_64 3
		.amdhsa_dx10_clamp 1
		.amdhsa_ieee_mode 1
		.amdhsa_fp16_overflow 0
		.amdhsa_tg_split 0
		.amdhsa_exception_fp_ieee_invalid_op 0
		.amdhsa_exception_fp_denorm_src 0
		.amdhsa_exception_fp_ieee_div_zero 0
		.amdhsa_exception_fp_ieee_overflow 0
		.amdhsa_exception_fp_ieee_underflow 0
		.amdhsa_exception_fp_ieee_inexact 0
		.amdhsa_exception_int_div_zero 0
	.end_amdhsa_kernel
	.text
.Lfunc_end0:
	.size	bluestein_single_back_len1936_dim1_dp_op_CI_CI, .Lfunc_end0-bluestein_single_back_len1936_dim1_dp_op_CI_CI
                                        ; -- End function
	.section	.AMDGPU.csdata,"",@progbits
; Kernel info:
; codeLenInByte = 18816
; NumSgprs: 50
; NumVgprs: 248
; NumAgprs: 0
; TotalNumVgprs: 248
; ScratchSize: 0
; MemoryBound: 0
; FloatMode: 240
; IeeeMode: 1
; LDSByteSize: 30976 bytes/workgroup (compile time only)
; SGPRBlocks: 6
; VGPRBlocks: 30
; NumSGPRsForWavesPerEU: 50
; NumVGPRsForWavesPerEU: 248
; AccumOffset: 248
; Occupancy: 2
; WaveLimiterHint : 1
; COMPUTE_PGM_RSRC2:SCRATCH_EN: 0
; COMPUTE_PGM_RSRC2:USER_SGPR: 2
; COMPUTE_PGM_RSRC2:TRAP_HANDLER: 0
; COMPUTE_PGM_RSRC2:TGID_X_EN: 1
; COMPUTE_PGM_RSRC2:TGID_Y_EN: 0
; COMPUTE_PGM_RSRC2:TGID_Z_EN: 0
; COMPUTE_PGM_RSRC2:TIDIG_COMP_CNT: 0
; COMPUTE_PGM_RSRC3_GFX90A:ACCUM_OFFSET: 61
; COMPUTE_PGM_RSRC3_GFX90A:TG_SPLIT: 0
	.text
	.p2alignl 6, 3212836864
	.fill 256, 4, 3212836864
	.type	__hip_cuid_546f10257336cab7,@object ; @__hip_cuid_546f10257336cab7
	.section	.bss,"aw",@nobits
	.globl	__hip_cuid_546f10257336cab7
__hip_cuid_546f10257336cab7:
	.byte	0                               ; 0x0
	.size	__hip_cuid_546f10257336cab7, 1

	.ident	"AMD clang version 19.0.0git (https://github.com/RadeonOpenCompute/llvm-project roc-6.4.0 25133 c7fe45cf4b819c5991fe208aaa96edf142730f1d)"
	.section	".note.GNU-stack","",@progbits
	.addrsig
	.addrsig_sym __hip_cuid_546f10257336cab7
	.amdgpu_metadata
---
amdhsa.kernels:
  - .agpr_count:     0
    .args:
      - .actual_access:  read_only
        .address_space:  global
        .offset:         0
        .size:           8
        .value_kind:     global_buffer
      - .actual_access:  read_only
        .address_space:  global
        .offset:         8
        .size:           8
        .value_kind:     global_buffer
      - .actual_access:  read_only
        .address_space:  global
        .offset:         16
        .size:           8
        .value_kind:     global_buffer
      - .actual_access:  read_only
        .address_space:  global
        .offset:         24
        .size:           8
        .value_kind:     global_buffer
      - .actual_access:  read_only
        .address_space:  global
        .offset:         32
        .size:           8
        .value_kind:     global_buffer
      - .offset:         40
        .size:           8
        .value_kind:     by_value
      - .address_space:  global
        .offset:         48
        .size:           8
        .value_kind:     global_buffer
      - .address_space:  global
        .offset:         56
        .size:           8
        .value_kind:     global_buffer
      - .address_space:  global
        .offset:         64
        .size:           8
        .value_kind:     global_buffer
      - .address_space:  global
        .offset:         72
        .size:           8
        .value_kind:     global_buffer
      - .offset:         80
        .size:           4
        .value_kind:     by_value
      - .address_space:  global
        .offset:         88
        .size:           8
        .value_kind:     global_buffer
      - .address_space:  global
        .offset:         96
        .size:           8
        .value_kind:     global_buffer
    .group_segment_fixed_size: 30976
    .kernarg_segment_align: 8
    .kernarg_segment_size: 104
    .language:       OpenCL C
    .language_version:
      - 2
      - 0
    .max_flat_workgroup_size: 176
    .name:           bluestein_single_back_len1936_dim1_dp_op_CI_CI
    .private_segment_fixed_size: 0
    .sgpr_count:     50
    .sgpr_spill_count: 0
    .symbol:         bluestein_single_back_len1936_dim1_dp_op_CI_CI.kd
    .uniform_work_group_size: 1
    .uses_dynamic_stack: false
    .vgpr_count:     248
    .vgpr_spill_count: 0
    .wavefront_size: 64
amdhsa.target:   amdgcn-amd-amdhsa--gfx950
amdhsa.version:
  - 1
  - 2
...

	.end_amdgpu_metadata
